;; amdgpu-corpus repo=ROCm/rocFFT kind=compiled arch=gfx1030 opt=O3
	.text
	.amdgcn_target "amdgcn-amd-amdhsa--gfx1030"
	.amdhsa_code_object_version 6
	.protected	fft_rtc_fwd_len3840_factors_10_6_2_2_2_2_2_2_wgs_128_tpt_128_halfLds_half_op_CI_CI_unitstride_sbrr_C2R_dirReg ; -- Begin function fft_rtc_fwd_len3840_factors_10_6_2_2_2_2_2_2_wgs_128_tpt_128_halfLds_half_op_CI_CI_unitstride_sbrr_C2R_dirReg
	.globl	fft_rtc_fwd_len3840_factors_10_6_2_2_2_2_2_2_wgs_128_tpt_128_halfLds_half_op_CI_CI_unitstride_sbrr_C2R_dirReg
	.p2align	8
	.type	fft_rtc_fwd_len3840_factors_10_6_2_2_2_2_2_2_wgs_128_tpt_128_halfLds_half_op_CI_CI_unitstride_sbrr_C2R_dirReg,@function
fft_rtc_fwd_len3840_factors_10_6_2_2_2_2_2_2_wgs_128_tpt_128_halfLds_half_op_CI_CI_unitstride_sbrr_C2R_dirReg: ; @fft_rtc_fwd_len3840_factors_10_6_2_2_2_2_2_2_wgs_128_tpt_128_halfLds_half_op_CI_CI_unitstride_sbrr_C2R_dirReg
; %bb.0:
	s_clause 0x2
	s_load_dwordx4 s[12:15], s[4:5], 0x0
	s_load_dwordx4 s[8:11], s[4:5], 0x58
	;; [unrolled: 1-line block ×3, first 2 shown]
	v_mov_b32_e32 v3, 0
	v_mov_b32_e32 v1, 0
	v_mov_b32_e32 v5, s6
	v_mov_b32_e32 v2, 0
	v_mov_b32_e32 v6, v3
	s_waitcnt lgkmcnt(0)
	v_cmp_lt_u64_e64 s0, s[14:15], 2
	s_and_b32 vcc_lo, exec_lo, s0
	s_cbranch_vccnz .LBB0_8
; %bb.1:
	s_load_dwordx2 s[0:1], s[4:5], 0x10
	v_mov_b32_e32 v1, 0
	v_mov_b32_e32 v2, 0
	s_add_u32 s2, s18, 8
	s_addc_u32 s3, s19, 0
	s_add_u32 s6, s16, 8
	s_addc_u32 s7, s17, 0
	v_mov_b32_e32 v22, v2
	v_mov_b32_e32 v21, v1
	s_mov_b64 s[22:23], 1
	s_waitcnt lgkmcnt(0)
	s_add_u32 s20, s0, 8
	s_addc_u32 s21, s1, 0
.LBB0_2:                                ; =>This Inner Loop Header: Depth=1
	s_load_dwordx2 s[24:25], s[20:21], 0x0
                                        ; implicit-def: $vgpr23_vgpr24
	s_mov_b32 s0, exec_lo
	s_waitcnt lgkmcnt(0)
	v_or_b32_e32 v4, s25, v6
	v_cmpx_ne_u64_e32 0, v[3:4]
	s_xor_b32 s1, exec_lo, s0
	s_cbranch_execz .LBB0_4
; %bb.3:                                ;   in Loop: Header=BB0_2 Depth=1
	v_cvt_f32_u32_e32 v4, s24
	v_cvt_f32_u32_e32 v7, s25
	s_sub_u32 s0, 0, s24
	s_subb_u32 s26, 0, s25
	v_fmac_f32_e32 v4, 0x4f800000, v7
	v_rcp_f32_e32 v4, v4
	v_mul_f32_e32 v4, 0x5f7ffffc, v4
	v_mul_f32_e32 v7, 0x2f800000, v4
	v_trunc_f32_e32 v7, v7
	v_fmac_f32_e32 v4, 0xcf800000, v7
	v_cvt_u32_f32_e32 v7, v7
	v_cvt_u32_f32_e32 v4, v4
	v_mul_lo_u32 v8, s0, v7
	v_mul_hi_u32 v9, s0, v4
	v_mul_lo_u32 v10, s26, v4
	v_add_nc_u32_e32 v8, v9, v8
	v_mul_lo_u32 v9, s0, v4
	v_add_nc_u32_e32 v8, v8, v10
	v_mul_hi_u32 v10, v4, v9
	v_mul_lo_u32 v11, v4, v8
	v_mul_hi_u32 v12, v4, v8
	v_mul_hi_u32 v13, v7, v9
	v_mul_lo_u32 v9, v7, v9
	v_mul_hi_u32 v14, v7, v8
	v_mul_lo_u32 v8, v7, v8
	v_add_co_u32 v10, vcc_lo, v10, v11
	v_add_co_ci_u32_e32 v11, vcc_lo, 0, v12, vcc_lo
	v_add_co_u32 v9, vcc_lo, v10, v9
	v_add_co_ci_u32_e32 v9, vcc_lo, v11, v13, vcc_lo
	v_add_co_ci_u32_e32 v10, vcc_lo, 0, v14, vcc_lo
	v_add_co_u32 v8, vcc_lo, v9, v8
	v_add_co_ci_u32_e32 v9, vcc_lo, 0, v10, vcc_lo
	v_add_co_u32 v4, vcc_lo, v4, v8
	v_add_co_ci_u32_e32 v7, vcc_lo, v7, v9, vcc_lo
	v_mul_hi_u32 v8, s0, v4
	v_mul_lo_u32 v10, s26, v4
	v_mul_lo_u32 v9, s0, v7
	v_add_nc_u32_e32 v8, v8, v9
	v_mul_lo_u32 v9, s0, v4
	v_add_nc_u32_e32 v8, v8, v10
	v_mul_hi_u32 v10, v4, v9
	v_mul_lo_u32 v11, v4, v8
	v_mul_hi_u32 v12, v4, v8
	v_mul_hi_u32 v13, v7, v9
	v_mul_lo_u32 v9, v7, v9
	v_mul_hi_u32 v14, v7, v8
	v_mul_lo_u32 v8, v7, v8
	v_add_co_u32 v10, vcc_lo, v10, v11
	v_add_co_ci_u32_e32 v11, vcc_lo, 0, v12, vcc_lo
	v_add_co_u32 v9, vcc_lo, v10, v9
	v_add_co_ci_u32_e32 v9, vcc_lo, v11, v13, vcc_lo
	v_add_co_ci_u32_e32 v10, vcc_lo, 0, v14, vcc_lo
	v_add_co_u32 v8, vcc_lo, v9, v8
	v_add_co_ci_u32_e32 v9, vcc_lo, 0, v10, vcc_lo
	v_add_co_u32 v4, vcc_lo, v4, v8
	v_add_co_ci_u32_e32 v11, vcc_lo, v7, v9, vcc_lo
	v_mul_hi_u32 v13, v5, v4
	v_mad_u64_u32 v[9:10], null, v6, v4, 0
	v_mad_u64_u32 v[7:8], null, v5, v11, 0
	;; [unrolled: 1-line block ×3, first 2 shown]
	v_add_co_u32 v4, vcc_lo, v13, v7
	v_add_co_ci_u32_e32 v7, vcc_lo, 0, v8, vcc_lo
	v_add_co_u32 v4, vcc_lo, v4, v9
	v_add_co_ci_u32_e32 v4, vcc_lo, v7, v10, vcc_lo
	v_add_co_ci_u32_e32 v7, vcc_lo, 0, v12, vcc_lo
	v_add_co_u32 v4, vcc_lo, v4, v11
	v_add_co_ci_u32_e32 v9, vcc_lo, 0, v7, vcc_lo
	v_mul_lo_u32 v10, s25, v4
	v_mad_u64_u32 v[7:8], null, s24, v4, 0
	v_mul_lo_u32 v11, s24, v9
	v_sub_co_u32 v7, vcc_lo, v5, v7
	v_add3_u32 v8, v8, v11, v10
	v_sub_nc_u32_e32 v10, v6, v8
	v_subrev_co_ci_u32_e64 v10, s0, s25, v10, vcc_lo
	v_add_co_u32 v11, s0, v4, 2
	v_add_co_ci_u32_e64 v12, s0, 0, v9, s0
	v_sub_co_u32 v13, s0, v7, s24
	v_sub_co_ci_u32_e32 v8, vcc_lo, v6, v8, vcc_lo
	v_subrev_co_ci_u32_e64 v10, s0, 0, v10, s0
	v_cmp_le_u32_e32 vcc_lo, s24, v13
	v_cmp_eq_u32_e64 s0, s25, v8
	v_cndmask_b32_e64 v13, 0, -1, vcc_lo
	v_cmp_le_u32_e32 vcc_lo, s25, v10
	v_cndmask_b32_e64 v14, 0, -1, vcc_lo
	v_cmp_le_u32_e32 vcc_lo, s24, v7
	;; [unrolled: 2-line block ×3, first 2 shown]
	v_cndmask_b32_e64 v15, 0, -1, vcc_lo
	v_cmp_eq_u32_e32 vcc_lo, s25, v10
	v_cndmask_b32_e64 v7, v15, v7, s0
	v_cndmask_b32_e32 v10, v14, v13, vcc_lo
	v_add_co_u32 v13, vcc_lo, v4, 1
	v_add_co_ci_u32_e32 v14, vcc_lo, 0, v9, vcc_lo
	v_cmp_ne_u32_e32 vcc_lo, 0, v10
	v_cndmask_b32_e32 v8, v14, v12, vcc_lo
	v_cndmask_b32_e32 v10, v13, v11, vcc_lo
	v_cmp_ne_u32_e32 vcc_lo, 0, v7
	v_cndmask_b32_e32 v24, v9, v8, vcc_lo
	v_cndmask_b32_e32 v23, v4, v10, vcc_lo
.LBB0_4:                                ;   in Loop: Header=BB0_2 Depth=1
	s_andn2_saveexec_b32 s0, s1
	s_cbranch_execz .LBB0_6
; %bb.5:                                ;   in Loop: Header=BB0_2 Depth=1
	v_cvt_f32_u32_e32 v4, s24
	s_sub_i32 s1, 0, s24
	v_mov_b32_e32 v24, v3
	v_rcp_iflag_f32_e32 v4, v4
	v_mul_f32_e32 v4, 0x4f7ffffe, v4
	v_cvt_u32_f32_e32 v4, v4
	v_mul_lo_u32 v7, s1, v4
	v_mul_hi_u32 v7, v4, v7
	v_add_nc_u32_e32 v4, v4, v7
	v_mul_hi_u32 v4, v5, v4
	v_mul_lo_u32 v7, v4, s24
	v_add_nc_u32_e32 v8, 1, v4
	v_sub_nc_u32_e32 v7, v5, v7
	v_subrev_nc_u32_e32 v9, s24, v7
	v_cmp_le_u32_e32 vcc_lo, s24, v7
	v_cndmask_b32_e32 v7, v7, v9, vcc_lo
	v_cndmask_b32_e32 v4, v4, v8, vcc_lo
	v_cmp_le_u32_e32 vcc_lo, s24, v7
	v_add_nc_u32_e32 v8, 1, v4
	v_cndmask_b32_e32 v23, v4, v8, vcc_lo
.LBB0_6:                                ;   in Loop: Header=BB0_2 Depth=1
	s_or_b32 exec_lo, exec_lo, s0
	v_mul_lo_u32 v4, v24, s24
	v_mul_lo_u32 v9, v23, s25
	s_load_dwordx2 s[0:1], s[6:7], 0x0
	v_mad_u64_u32 v[7:8], null, v23, s24, 0
	s_load_dwordx2 s[24:25], s[2:3], 0x0
	s_add_u32 s22, s22, 1
	s_addc_u32 s23, s23, 0
	s_add_u32 s2, s2, 8
	s_addc_u32 s3, s3, 0
	s_add_u32 s6, s6, 8
	v_add3_u32 v4, v8, v9, v4
	v_sub_co_u32 v5, vcc_lo, v5, v7
	s_addc_u32 s7, s7, 0
	s_add_u32 s20, s20, 8
	v_sub_co_ci_u32_e32 v4, vcc_lo, v6, v4, vcc_lo
	s_addc_u32 s21, s21, 0
	s_waitcnt lgkmcnt(0)
	v_mul_lo_u32 v6, s0, v4
	v_mul_lo_u32 v7, s1, v5
	v_mad_u64_u32 v[1:2], null, s0, v5, v[1:2]
	v_mul_lo_u32 v4, s24, v4
	v_mul_lo_u32 v8, s25, v5
	v_mad_u64_u32 v[21:22], null, s24, v5, v[21:22]
	v_cmp_ge_u64_e64 s0, s[22:23], s[14:15]
	v_add3_u32 v2, v7, v2, v6
	v_add3_u32 v22, v8, v22, v4
	s_and_b32 vcc_lo, exec_lo, s0
	s_cbranch_vccnz .LBB0_9
; %bb.7:                                ;   in Loop: Header=BB0_2 Depth=1
	v_mov_b32_e32 v5, v23
	v_mov_b32_e32 v6, v24
	s_branch .LBB0_2
.LBB0_8:
	v_mov_b32_e32 v22, v2
	v_mov_b32_e32 v24, v6
	;; [unrolled: 1-line block ×4, first 2 shown]
.LBB0_9:
	s_load_dwordx2 s[0:1], s[4:5], 0x28
	s_lshl_b64 s[4:5], s[14:15], 3
                                        ; implicit-def: $vgpr25
                                        ; implicit-def: $vgpr3_vgpr4
	s_add_u32 s2, s18, s4
	s_addc_u32 s3, s19, s5
	s_waitcnt lgkmcnt(0)
	v_cmp_gt_u64_e32 vcc_lo, s[0:1], v[23:24]
	v_cmp_le_u64_e64 s0, s[0:1], v[23:24]
	s_and_saveexec_b32 s1, s0
	s_xor_b32 s0, exec_lo, s1
; %bb.10:
	v_mov_b32_e32 v1, 0
	v_mov_b32_e32 v25, v0
	;; [unrolled: 1-line block ×4, first 2 shown]
                                        ; implicit-def: $vgpr1_vgpr2
; %bb.11:
	s_or_saveexec_b32 s1, s0
	s_load_dwordx2 s[2:3], s[2:3], 0x0
                                        ; implicit-def: $vgpr27
	s_xor_b32 exec_lo, exec_lo, s1
	s_cbranch_execz .LBB0_15
; %bb.12:
	s_add_u32 s4, s16, s4
	s_addc_u32 s5, s17, s5
	v_lshlrev_b32_e32 v20, 2, v0
	s_load_dwordx2 s[4:5], s[4:5], 0x0
	v_mov_b32_e32 v25, v0
	v_or_b32_e32 v7, 0x800, v20
	v_or_b32_e32 v8, 0xa00, v20
	;; [unrolled: 1-line block ×8, first 2 shown]
	s_waitcnt lgkmcnt(0)
	v_mul_lo_u32 v5, s5, v23
	v_mul_lo_u32 v6, s4, v24
	v_mad_u64_u32 v[3:4], null, s4, v23, 0
	v_add3_u32 v4, v4, v6, v5
	v_lshlrev_b64 v[5:6], 2, v[1:2]
	v_lshlrev_b64 v[1:2], 2, v[3:4]
	v_add_co_u32 v1, s0, s8, v1
	v_add_co_ci_u32_e64 v3, s0, s9, v2, s0
	v_add_co_u32 v2, s0, v1, v5
	v_add_co_ci_u32_e64 v5, s0, v3, v6, s0
	v_or_b32_e32 v1, 0x1400, v20
	v_add_co_u32 v3, s0, v2, v20
	v_add_co_ci_u32_e64 v4, s0, 0, v5, s0
	v_add_co_u32 v6, s0, v2, v7
	v_add_co_ci_u32_e64 v7, s0, 0, v5, s0
	;; [unrolled: 2-line block ×6, first 2 shown]
	s_clause 0x7
	global_load_dword v27, v[3:4], off
	global_load_dword v28, v[3:4], off offset:512
	global_load_dword v29, v[3:4], off offset:1024
	;; [unrolled: 1-line block ×3, first 2 shown]
	global_load_dword v31, v[6:7], off
	global_load_dword v32, v[8:9], off
	;; [unrolled: 1-line block ×4, first 2 shown]
	v_add_co_u32 v3, s0, v2, v16
	v_or_b32_e32 v8, 0x1600, v20
	v_add_co_ci_u32_e64 v4, s0, 0, v5, s0
	v_add_co_u32 v6, s0, v2, v1
	v_or_b32_e32 v1, 0x1800, v20
	v_add_co_ci_u32_e64 v7, s0, 0, v5, s0
	;; [unrolled: 3-line block ×4, first 2 shown]
	v_add_co_u32 v12, s0, v2, v12
	v_add_co_ci_u32_e64 v13, s0, 0, v5, s0
	v_add_co_u32 v16, s0, v2, v1
	v_add_co_ci_u32_e64 v17, s0, 0, v5, s0
	v_or_b32_e32 v1, 0x2000, v20
	v_add_co_u32 v18, s0, v2, v35
	v_add_co_ci_u32_e64 v19, s0, 0, v5, s0
	s_clause 0x7
	global_load_dword v36, v[14:15], off
	global_load_dword v37, v[3:4], off
	;; [unrolled: 1-line block ×8, first 2 shown]
	v_or_b32_e32 v6, 0x2200, v20
	v_add_co_u32 v3, s0, v2, v1
	v_or_b32_e32 v1, 0x2400, v20
	v_add_co_ci_u32_e64 v4, s0, 0, v5, s0
	v_add_co_u32 v6, s0, v2, v6
	v_or_b32_e32 v10, 0x2600, v20
	v_add_co_ci_u32_e64 v7, s0, 0, v5, s0
	v_add_co_u32 v8, s0, v2, v1
	v_or_b32_e32 v1, 0x2800, v20
	v_add_co_ci_u32_e64 v9, s0, 0, v5, s0
	v_add_co_u32 v10, s0, v2, v10
	v_or_b32_e32 v14, 0x2a00, v20
	v_add_co_ci_u32_e64 v11, s0, 0, v5, s0
	v_add_co_u32 v12, s0, v2, v1
	v_or_b32_e32 v1, 0x2c00, v20
	v_add_co_ci_u32_e64 v13, s0, 0, v5, s0
	v_add_co_u32 v14, s0, v2, v14
	v_add_co_ci_u32_e64 v15, s0, 0, v5, s0
	v_add_co_u32 v16, s0, v2, v1
	v_add_co_ci_u32_e64 v17, s0, 0, v5, s0
	v_or_b32_e32 v1, 0x3000, v20
	v_add_co_u32 v18, s0, v2, v44
	v_add_co_ci_u32_e64 v19, s0, 0, v5, s0
	s_clause 0x7
	global_load_dword v45, v[3:4], off
	global_load_dword v46, v[6:7], off
	;; [unrolled: 1-line block ×8, first 2 shown]
	v_or_b32_e32 v6, 0x3200, v20
	v_add_co_u32 v3, s0, v2, v1
	v_or_b32_e32 v1, 0x3400, v20
	v_add_co_ci_u32_e64 v4, s0, 0, v5, s0
	v_add_co_u32 v6, s0, v2, v6
	v_or_b32_e32 v10, 0x3600, v20
	v_add_co_ci_u32_e64 v7, s0, 0, v5, s0
	;; [unrolled: 3-line block ×4, first 2 shown]
	v_add_co_u32 v12, s0, v2, v1
	v_add_co_ci_u32_e64 v13, s0, 0, v5, s0
	v_add_co_u32 v14, s0, v2, v14
	v_add_co_ci_u32_e64 v15, s0, 0, v5, s0
	s_clause 0x5
	global_load_dword v18, v[3:4], off
	global_load_dword v6, v[6:7], off
	;; [unrolled: 1-line block ×6, first 2 shown]
	v_mov_b32_e32 v1, 0
	v_cmp_eq_u32_e64 s0, 0x7f, v0
	v_add_nc_u32_e32 v11, 0, v20
	v_add_nc_u32_e32 v12, 0, v26
	;; [unrolled: 1-line block ×3, first 2 shown]
	v_mov_b32_e32 v4, v1
	v_mov_b32_e32 v3, v0
	v_add_nc_u32_e32 v14, 0, v44
	s_waitcnt vmcnt(28)
	ds_write2st64_b32 v11, v27, v28 offset1:2
	s_waitcnt vmcnt(26)
	ds_write2st64_b32 v11, v29, v30 offset0:4 offset1:6
	s_waitcnt vmcnt(24)
	ds_write2st64_b32 v11, v31, v32 offset0:8 offset1:10
	s_waitcnt vmcnt(22)
	ds_write_b32 v12, v34
	s_waitcnt vmcnt(21)
	ds_write2st64_b32 v11, v33, v36 offset0:12 offset1:16
	s_waitcnt vmcnt(19)
	ds_write2st64_b32 v11, v37, v38 offset0:18 offset1:20
	;; [unrolled: 2-line block ×4, first 2 shown]
	s_waitcnt vmcnt(14)
	ds_write_b32 v13, v43
	s_waitcnt vmcnt(12)
	ds_write2st64_b32 v11, v45, v46 offset0:32 offset1:34
	s_waitcnt vmcnt(10)
	ds_write2st64_b32 v11, v47, v48 offset0:36 offset1:38
	;; [unrolled: 2-line block ×3, first 2 shown]
	s_waitcnt vmcnt(6)
	ds_write_b32 v14, v17
	s_waitcnt vmcnt(5)
	ds_write2st64_b32 v11, v16, v18 offset0:44 offset1:48
	s_waitcnt vmcnt(3)
	ds_write2st64_b32 v11, v6, v7 offset0:50 offset1:52
	;; [unrolled: 2-line block ×3, first 2 shown]
	s_waitcnt vmcnt(0)
	ds_write_b32 v11, v10 offset:14848
	s_and_saveexec_b32 s4, s0
	s_cbranch_execz .LBB0_14
; %bb.13:
	v_add_co_u32 v2, s0, 0x3800, v2
	v_add_co_ci_u32_e64 v3, s0, 0, v5, s0
	v_mov_b32_e32 v25, 0x7f
	global_load_dword v2, v[2:3], off offset:1024
	v_mov_b32_e32 v3, 0x7f
	v_mov_b32_e32 v4, 0
	s_waitcnt vmcnt(0)
	ds_write_b32 v1, v2 offset:15360
.LBB0_14:
	s_or_b32 exec_lo, exec_lo, s4
	v_mov_b32_e32 v27, v25
.LBB0_15:
	s_or_b32 exec_lo, exec_lo, s1
	v_lshlrev_b32_e32 v1, 2, v25
	s_waitcnt lgkmcnt(0)
	s_barrier
	buffer_gl0_inv
	v_lshlrev_b64 v[64:65], 2, v[3:4]
	v_add_nc_u32_e32 v72, 0, v1
	v_sub_nc_u32_e32 v1, 0, v1
	s_add_u32 s4, s12, 0x3bd8
	s_addc_u32 s5, s13, 0
	s_mov_b32 s1, exec_lo
	ds_read_u16 v5, v72
	ds_read_u16 v6, v1 offset:15360
	s_waitcnt lgkmcnt(0)
	v_add_f16_e32 v2, v6, v5
	v_sub_f16_e32 v3, v5, v6
	v_cmpx_ne_u32_e32 0, v25
	s_xor_b32 s1, exec_lo, s1
	s_cbranch_execz .LBB0_17
; %bb.16:
	v_add_co_u32 v2, s0, s4, v64
	v_add_co_ci_u32_e64 v3, s0, s5, v65, s0
	v_add_f16_e32 v7, v6, v5
	v_sub_f16_e32 v5, v5, v6
	global_load_dword v4, v[2:3], off
	ds_read_u16 v2, v1 offset:15362
	ds_read_u16 v3, v72 offset:2
	s_waitcnt lgkmcnt(0)
	v_add_f16_e32 v6, v2, v3
	v_sub_f16_e32 v2, v3, v2
	s_waitcnt vmcnt(0)
	v_lshrrev_b32_e32 v8, 16, v4
	v_fma_f16 v9, -v5, v8, v7
	v_fma_f16 v10, v6, v8, -v2
	v_fma_f16 v7, v5, v8, v7
	v_fma_f16 v3, v6, v8, v2
	v_fmac_f16_e32 v9, v4, v6
	v_fmac_f16_e32 v10, v5, v4
	v_fma_f16 v2, -v4, v6, v7
	v_fmac_f16_e32 v3, v5, v4
	v_pack_b32_f16 v6, v9, v10
	ds_write_b32 v1, v6 offset:15360
.LBB0_17:
	s_andn2_saveexec_b32 s0, s1
	s_cbranch_execz .LBB0_19
; %bb.18:
	v_mov_b32_e32 v4, 0
	ds_read_b32 v5, v4 offset:7680
	s_waitcnt lgkmcnt(0)
	v_pk_mul_f16 v5, 0xc0004000, v5
	ds_write_b32 v4, v5 offset:7680
.LBB0_19:
	s_or_b32 exec_lo, exec_lo, s0
	v_mov_b32_e32 v26, 0
	v_or_b32_e32 v61, 0x200, v25
	v_or_b32_e32 v57, 0x300, v25
	v_perm_b32 v2, v3, v2, 0x5040100
	v_or_b32_e32 v52, 0x400, v25
	v_lshlrev_b64 v[59:60], 2, v[25:26]
	v_mov_b32_e32 v62, v26
	v_mov_b32_e32 v63, v26
	v_mov_b32_e32 v58, v26
	v_mov_b32_e32 v53, v26
	v_or_b32_e32 v48, 0x480, v25
	v_add_co_u32 v4, s0, s4, v59
	v_add_co_ci_u32_e64 v5, s0, s5, v60, s0
	v_lshlrev_b64 v[42:43], 2, v[61:62]
	v_or_b32_e32 v62, 0x280, v25
	v_lshlrev_b64 v[46:47], 2, v[57:58]
	s_clause 0x2
	global_load_dword v6, v[4:5], off offset:512
	global_load_dword v7, v[4:5], off offset:1024
	;; [unrolled: 1-line block ×3, first 2 shown]
	v_or_b32_e32 v58, 0x380, v0
	ds_write_b32 v72, v2
	v_add_co_u32 v4, s0, s4, v42
	v_add_co_ci_u32_e64 v5, s0, s5, v43, s0
	v_lshlrev_b64 v[44:45], 2, v[62:63]
	v_lshlrev_b32_e32 v63, 2, v58
	v_lshlrev_b64 v[28:29], 2, v[52:53]
	global_load_dword v9, v[4:5], off
	v_mov_b32_e32 v49, v26
	v_mov_b32_e32 v50, v26
	v_add_co_u32 v4, s0, s4, v44
	v_add_co_ci_u32_e64 v5, s0, s5, v45, s0
	v_lshlrev_b64 v[30:31], 2, v[48:49]
	v_or_b32_e32 v49, 0x500, v25
	v_mov_b32_e32 v51, v26
	global_load_dword v10, v[4:5], off
	v_add_co_u32 v4, s0, s4, v46
	v_add_co_ci_u32_e64 v5, s0, s5, v47, s0
	v_add_co_u32 v2, s0, s4, v28
	v_add_co_ci_u32_e64 v3, s0, s5, v29, s0
	s_clause 0x1
	global_load_dword v4, v[4:5], off
	global_load_dword v5, v63, s[4:5]
	ds_read_b32 v11, v72 offset:512
	ds_read_b32 v12, v1 offset:14848
	global_load_dword v13, v[2:3], off
	v_lshlrev_b64 v[32:33], 2, v[49:50]
	v_or_b32_e32 v50, 0x580, v25
	v_or_b32_e32 v53, 0x600, v25
	v_mov_b32_e32 v54, v26
	v_mov_b32_e32 v55, v26
	;; [unrolled: 1-line block ×3, first 2 shown]
	v_lshlrev_b64 v[34:35], 2, v[50:51]
	v_add_nc_u32_e32 v51, 0, v63
	v_lshlrev_b64 v[36:37], 2, v[53:54]
	v_or_b32_e32 v54, 0x680, v25
	v_subrev_nc_u32_e32 v0, 64, v0
	v_lshlrev_b64 v[38:39], 2, v[54:55]
	v_or_b32_e32 v55, 0x700, v25
	s_waitcnt lgkmcnt(0)
	v_add_f16_e32 v2, v11, v12
	v_add_f16_sdwa v3, v12, v11 dst_sel:DWORD dst_unused:UNUSED_PAD src0_sel:WORD_1 src1_sel:WORD_1
	v_sub_f16_e32 v14, v11, v12
	v_sub_f16_sdwa v11, v11, v12 dst_sel:DWORD dst_unused:UNUSED_PAD src0_sel:WORD_1 src1_sel:WORD_1
	v_lshlrev_b64 v[40:41], 2, v[55:56]
	s_waitcnt vmcnt(7)
	v_lshrrev_b32_e32 v15, 16, v6
	v_fma_f16 v12, v14, v15, v2
	v_fma_f16 v16, v3, v15, v11
	v_fma_f16 v2, -v14, v15, v2
	v_fma_f16 v11, v3, v15, -v11
	v_fma_f16 v12, -v6, v3, v12
	v_fmac_f16_e32 v16, v14, v6
	v_fmac_f16_e32 v2, v6, v3
	;; [unrolled: 1-line block ×3, first 2 shown]
	v_pack_b32_f16 v3, v12, v16
	s_waitcnt vmcnt(6)
	v_lshrrev_b32_e32 v12, 16, v7
	v_pack_b32_f16 v2, v2, v11
	ds_write_b32 v72, v3 offset:512
	ds_write_b32 v1, v2 offset:14848
	ds_read_b32 v6, v72 offset:1024
	ds_read_b32 v11, v1 offset:14336
	v_add_co_u32 v2, s0, s4, v30
	v_add_co_ci_u32_e64 v3, s0, s5, v31, s0
	s_waitcnt lgkmcnt(0)
	v_add_f16_e32 v14, v6, v11
	v_add_f16_sdwa v15, v11, v6 dst_sel:DWORD dst_unused:UNUSED_PAD src0_sel:WORD_1 src1_sel:WORD_1
	v_sub_f16_e32 v16, v6, v11
	v_sub_f16_sdwa v6, v6, v11 dst_sel:DWORD dst_unused:UNUSED_PAD src0_sel:WORD_1 src1_sel:WORD_1
	global_load_dword v11, v[2:3], off
	v_fma_f16 v2, v16, v12, v14
	v_fma_f16 v3, v15, v12, v6
	v_fma_f16 v14, -v16, v12, v14
	v_fma_f16 v6, v15, v12, -v6
	s_waitcnt vmcnt(6)
	v_lshrrev_b32_e32 v12, 16, v8
	v_fma_f16 v2, -v7, v15, v2
	v_fmac_f16_e32 v3, v16, v7
	v_fmac_f16_e32 v14, v7, v15
	v_fmac_f16_e32 v6, v16, v7
	v_pack_b32_f16 v2, v2, v3
	v_pack_b32_f16 v3, v14, v6
	ds_write_b32 v72, v2 offset:1024
	ds_write_b32 v1, v3 offset:14336
	ds_read_b32 v6, v72 offset:1536
	ds_read_b32 v7, v1 offset:13824
	v_add_co_u32 v2, s0, s4, v32
	v_add_co_ci_u32_e64 v3, s0, s5, v33, s0
	s_waitcnt lgkmcnt(0)
	v_add_f16_e32 v14, v6, v7
	v_add_f16_sdwa v15, v7, v6 dst_sel:DWORD dst_unused:UNUSED_PAD src0_sel:WORD_1 src1_sel:WORD_1
	v_sub_f16_e32 v16, v6, v7
	v_sub_f16_sdwa v6, v6, v7 dst_sel:DWORD dst_unused:UNUSED_PAD src0_sel:WORD_1 src1_sel:WORD_1
	global_load_dword v7, v[2:3], off
	v_fma_f16 v2, v16, v12, v14
	v_fma_f16 v3, v15, v12, v6
	v_fma_f16 v14, -v16, v12, v14
	v_fma_f16 v6, v15, v12, -v6
	s_waitcnt vmcnt(6)
	v_lshrrev_b32_e32 v12, 16, v9
	v_fma_f16 v2, -v8, v15, v2
	v_fmac_f16_e32 v3, v16, v8
	v_fmac_f16_e32 v14, v8, v15
	v_fmac_f16_e32 v6, v16, v8
	v_pack_b32_f16 v2, v2, v3
	;; [unrolled: 24-line block ×3, first 2 shown]
	v_pack_b32_f16 v3, v14, v6
	ds_write_b32 v72, v2 offset:2048
	ds_write_b32 v1, v3 offset:13312
	ds_read_b32 v6, v72 offset:2560
	ds_read_b32 v9, v1 offset:12800
	v_add_co_u32 v2, s0, s4, v36
	v_add_co_ci_u32_e64 v3, s0, s5, v37, s0
	s_waitcnt lgkmcnt(0)
	v_add_f16_e32 v14, v6, v9
	v_add_f16_sdwa v15, v9, v6 dst_sel:DWORD dst_unused:UNUSED_PAD src0_sel:WORD_1 src1_sel:WORD_1
	v_sub_f16_e32 v16, v6, v9
	v_sub_f16_sdwa v6, v6, v9 dst_sel:DWORD dst_unused:UNUSED_PAD src0_sel:WORD_1 src1_sel:WORD_1
	global_load_dword v9, v[2:3], off
	v_fma_f16 v2, v16, v12, v14
	v_fma_f16 v3, v15, v12, v6
	v_fma_f16 v14, -v16, v12, v14
	v_fma_f16 v6, v15, v12, -v6
	v_fma_f16 v2, -v10, v15, v2
	v_fmac_f16_e32 v3, v16, v10
	v_fmac_f16_e32 v14, v10, v15
	;; [unrolled: 1-line block ×3, first 2 shown]
	v_pack_b32_f16 v2, v2, v3
	v_pack_b32_f16 v3, v14, v6
	ds_write_b32 v72, v2 offset:2560
	ds_write_b32 v1, v3 offset:12800
	v_add_co_u32 v2, s0, s4, v38
	ds_read_b32 v6, v72 offset:3072
	ds_read_b32 v10, v1 offset:12288
	v_add_co_ci_u32_e64 v3, s0, s5, v39, s0
	global_load_dword v12, v[2:3], off
	s_waitcnt vmcnt(7)
	v_lshrrev_b32_e32 v2, 16, v4
	s_waitcnt lgkmcnt(0)
	v_add_f16_e32 v3, v6, v10
	v_add_f16_sdwa v14, v10, v6 dst_sel:DWORD dst_unused:UNUSED_PAD src0_sel:WORD_1 src1_sel:WORD_1
	v_sub_f16_e32 v15, v6, v10
	v_sub_f16_sdwa v6, v6, v10 dst_sel:DWORD dst_unused:UNUSED_PAD src0_sel:WORD_1 src1_sel:WORD_1
	v_fma_f16 v10, v15, v2, v3
	v_fma_f16 v16, v14, v2, v6
	v_fma_f16 v3, -v15, v2, v3
	v_fma_f16 v2, v14, v2, -v6
	v_fma_f16 v6, -v4, v14, v10
	v_fmac_f16_e32 v16, v15, v4
	v_fmac_f16_e32 v3, v4, v14
	;; [unrolled: 1-line block ×3, first 2 shown]
	v_pack_b32_f16 v4, v6, v16
	v_pack_b32_f16 v2, v3, v2
	ds_write_b32 v72, v4 offset:3072
	ds_write_b32 v1, v2 offset:12288
	v_add_co_u32 v2, s0, s4, v40
	v_add_co_ci_u32_e64 v3, s0, s5, v41, s0
	ds_read_b32 v4, v51
	ds_read_b32 v6, v1 offset:11776
	v_cmp_gt_u32_e64 s0, 0x78, v25
	global_load_dword v2, v[2:3], off
	s_waitcnt vmcnt(7)
	v_lshrrev_b32_e32 v3, 16, v5
	s_waitcnt lgkmcnt(0)
	v_add_f16_e32 v10, v4, v6
	v_add_f16_sdwa v14, v6, v4 dst_sel:DWORD dst_unused:UNUSED_PAD src0_sel:WORD_1 src1_sel:WORD_1
	v_sub_f16_e32 v15, v4, v6
	v_sub_f16_sdwa v4, v4, v6 dst_sel:DWORD dst_unused:UNUSED_PAD src0_sel:WORD_1 src1_sel:WORD_1
	v_fma_f16 v6, v15, v3, v10
	v_fma_f16 v16, v14, v3, v4
	v_fma_f16 v10, -v15, v3, v10
	v_fma_f16 v3, v14, v3, -v4
	v_fma_f16 v4, -v5, v14, v6
	v_fmac_f16_e32 v16, v15, v5
	v_fmac_f16_e32 v10, v5, v14
	;; [unrolled: 1-line block ×3, first 2 shown]
	s_waitcnt vmcnt(6)
	v_lshrrev_b32_e32 v5, 16, v13
	v_pack_b32_f16 v4, v4, v16
	v_pack_b32_f16 v3, v10, v3
	ds_write_b32 v51, v4
	ds_write_b32 v1, v3 offset:11776
	ds_read_b32 v3, v72 offset:4096
	ds_read_b32 v4, v1 offset:11264
	s_waitcnt lgkmcnt(0)
	v_add_f16_e32 v6, v3, v4
	v_sub_f16_e32 v10, v3, v4
	v_add_f16_sdwa v14, v4, v3 dst_sel:DWORD dst_unused:UNUSED_PAD src0_sel:WORD_1 src1_sel:WORD_1
	v_sub_f16_sdwa v3, v3, v4 dst_sel:DWORD dst_unused:UNUSED_PAD src0_sel:WORD_1 src1_sel:WORD_1
	v_fma_f16 v4, v10, v5, v6
	v_fma_f16 v6, -v10, v5, v6
	v_fma_f16 v15, v14, v5, v3
	v_fma_f16 v3, v14, v5, -v3
	v_fma_f16 v4, -v13, v14, v4
	v_fmac_f16_e32 v6, v13, v14
	v_fmac_f16_e32 v15, v10, v13
	;; [unrolled: 1-line block ×3, first 2 shown]
	v_pack_b32_f16 v4, v4, v15
	v_pack_b32_f16 v3, v6, v3
	ds_write_b32 v72, v4 offset:4096
	ds_write_b32 v1, v3 offset:11264
	ds_read_b32 v3, v72 offset:4608
	ds_read_b32 v4, v1 offset:10752
	s_waitcnt lgkmcnt(0)
	v_add_f16_e32 v6, v3, v4
	v_sub_f16_e32 v10, v3, v4
	v_add_f16_sdwa v13, v4, v3 dst_sel:DWORD dst_unused:UNUSED_PAD src0_sel:WORD_1 src1_sel:WORD_1
	v_sub_f16_sdwa v3, v3, v4 dst_sel:DWORD dst_unused:UNUSED_PAD src0_sel:WORD_1 src1_sel:WORD_1
	s_waitcnt vmcnt(5)
	v_lshrrev_b32_e32 v5, 16, v11
	v_fma_f16 v4, v10, v5, v6
	v_fma_f16 v14, v13, v5, v3
	v_fma_f16 v6, -v10, v5, v6
	v_fma_f16 v3, v13, v5, -v3
	v_fma_f16 v4, -v11, v13, v4
	v_fmac_f16_e32 v14, v10, v11
	v_fmac_f16_e32 v6, v11, v13
	v_fmac_f16_e32 v3, v10, v11
	v_pack_b32_f16 v4, v4, v14
	v_pack_b32_f16 v3, v6, v3
	ds_write_b32 v72, v4 offset:4608
	ds_write_b32 v1, v3 offset:10752
	ds_read_b32 v3, v72 offset:5120
	ds_read_b32 v4, v1 offset:10240
	s_waitcnt lgkmcnt(0)
	v_add_f16_e32 v6, v3, v4
	v_sub_f16_e32 v10, v3, v4
	s_waitcnt vmcnt(4)
	v_lshrrev_b32_e32 v5, 16, v7
	v_add_f16_sdwa v11, v4, v3 dst_sel:DWORD dst_unused:UNUSED_PAD src0_sel:WORD_1 src1_sel:WORD_1
	v_sub_f16_sdwa v3, v3, v4 dst_sel:DWORD dst_unused:UNUSED_PAD src0_sel:WORD_1 src1_sel:WORD_1
	v_fma_f16 v4, v10, v5, v6
	v_fma_f16 v6, -v10, v5, v6
	v_fma_f16 v13, v11, v5, v3
	v_fma_f16 v3, v11, v5, -v3
	v_fma_f16 v4, -v7, v11, v4
	v_fmac_f16_e32 v6, v7, v11
	v_fmac_f16_e32 v13, v10, v7
	v_fmac_f16_e32 v3, v10, v7
	v_pack_b32_f16 v4, v4, v13
	v_pack_b32_f16 v3, v6, v3
	ds_write_b32 v72, v4 offset:5120
	ds_write_b32 v1, v3 offset:10240
	ds_read_b32 v3, v72 offset:5632
	ds_read_b32 v4, v1 offset:9728
	s_waitcnt lgkmcnt(0)
	v_add_f16_e32 v6, v3, v4
	v_sub_f16_e32 v7, v3, v4
	s_waitcnt vmcnt(3)
	v_lshrrev_b32_e32 v5, 16, v8
	v_add_f16_sdwa v10, v4, v3 dst_sel:DWORD dst_unused:UNUSED_PAD src0_sel:WORD_1 src1_sel:WORD_1
	v_sub_f16_sdwa v3, v3, v4 dst_sel:DWORD dst_unused:UNUSED_PAD src0_sel:WORD_1 src1_sel:WORD_1
	v_fma_f16 v4, v7, v5, v6
	v_fma_f16 v6, -v7, v5, v6
	v_fma_f16 v11, v10, v5, v3
	;; [unrolled: 21-line block ×3, first 2 shown]
	v_fma_f16 v3, v8, v5, -v3
	v_fma_f16 v4, -v9, v8, v4
	v_fmac_f16_e32 v6, v9, v8
	v_fmac_f16_e32 v10, v7, v9
	;; [unrolled: 1-line block ×3, first 2 shown]
	v_pack_b32_f16 v4, v4, v10
	v_pack_b32_f16 v3, v6, v3
	ds_write_b32 v72, v4 offset:6144
	ds_write_b32 v1, v3 offset:9216
	ds_read_b32 v3, v72 offset:6656
	ds_read_b32 v4, v1 offset:8704
	s_waitcnt vmcnt(1)
	v_lshrrev_b32_e32 v5, 16, v12
	s_waitcnt lgkmcnt(0)
	v_add_f16_e32 v6, v3, v4
	v_sub_f16_e32 v7, v3, v4
	v_add_f16_sdwa v8, v4, v3 dst_sel:DWORD dst_unused:UNUSED_PAD src0_sel:WORD_1 src1_sel:WORD_1
	v_sub_f16_sdwa v3, v3, v4 dst_sel:DWORD dst_unused:UNUSED_PAD src0_sel:WORD_1 src1_sel:WORD_1
	v_fma_f16 v4, v7, v5, v6
	v_fma_f16 v6, -v7, v5, v6
	v_fma_f16 v9, v8, v5, v3
	v_fma_f16 v3, v8, v5, -v3
	v_fma_f16 v4, -v12, v8, v4
	v_fmac_f16_e32 v6, v12, v8
	v_fmac_f16_e32 v9, v7, v12
	;; [unrolled: 1-line block ×3, first 2 shown]
	v_pack_b32_f16 v4, v4, v9
	v_pack_b32_f16 v3, v6, v3
	ds_write_b32 v72, v4 offset:6656
	ds_write_b32 v1, v3 offset:8704
	ds_read_b32 v3, v72 offset:7168
	ds_read_b32 v4, v1 offset:8192
	s_waitcnt vmcnt(0)
	v_lshrrev_b32_e32 v5, 16, v2
	s_waitcnt lgkmcnt(0)
	v_add_f16_e32 v6, v3, v4
	v_sub_f16_e32 v7, v3, v4
	v_add_f16_sdwa v8, v4, v3 dst_sel:DWORD dst_unused:UNUSED_PAD src0_sel:WORD_1 src1_sel:WORD_1
	v_sub_f16_sdwa v3, v3, v4 dst_sel:DWORD dst_unused:UNUSED_PAD src0_sel:WORD_1 src1_sel:WORD_1
	v_fma_f16 v4, v7, v5, v6
	v_fma_f16 v6, -v7, v5, v6
	v_fma_f16 v9, v8, v5, v3
	v_fma_f16 v3, v8, v5, -v3
	v_fma_f16 v4, -v2, v8, v4
	v_fmac_f16_e32 v6, v2, v8
	v_fmac_f16_e32 v9, v7, v2
	;; [unrolled: 1-line block ×3, first 2 shown]
	v_pack_b32_f16 v2, v4, v9
	v_pack_b32_f16 v3, v6, v3
	ds_write_b32 v72, v2 offset:7168
	ds_write_b32 v1, v3 offset:8192
	s_waitcnt lgkmcnt(0)
	s_barrier
	buffer_gl0_inv
	s_barrier
	buffer_gl0_inv
	ds_read2st64_b32 v[5:6], v72 offset0:12 offset1:14
	ds_read2st64_b32 v[3:4], v72 offset0:24 offset1:26
	;; [unrolled: 1-line block ×8, first 2 shown]
	ds_read2st64_b32 v[19:20], v72 offset1:2
	ds_read2st64_b32 v[66:67], v72 offset0:8 offset1:10
	ds_read2st64_b32 v[101:102], v72 offset0:4 offset1:6
	;; [unrolled: 1-line block ×6, first 2 shown]
	s_waitcnt lgkmcnt(0)
	s_barrier
	buffer_gl0_inv
	v_sub_f16_e32 v76, v6, v4
	v_sub_f16_sdwa v95, v6, v4 dst_sel:DWORD dst_unused:UNUSED_PAD src0_sel:WORD_1 src1_sel:WORD_1
	v_sub_f16_e32 v151, v4, v6
	v_sub_f16_sdwa v152, v4, v6 dst_sel:DWORD dst_unused:UNUSED_PAD src0_sel:WORD_1 src1_sel:WORD_1
	v_add_f16_e32 v158, v16, v12
	v_sub_f16_sdwa v70, v16, v12 dst_sel:DWORD dst_unused:UNUSED_PAD src0_sel:WORD_1 src1_sel:WORD_1
	v_sub_f16_e32 v75, v18, v16
	v_pk_add_f16 v71, v20, v6
	v_pk_add_f16 v88, v67, v18
	v_pk_add_f16 v83, v66, v17
	v_sub_f16_e32 v114, v16, v18
	v_add_f16_sdwa v68, v16, v12 dst_sel:DWORD dst_unused:UNUSED_PAD src0_sel:WORD_1 src1_sel:WORD_1
	v_sub_f16_e32 v69, v16, v12
	v_sub_f16_sdwa v77, v18, v16 dst_sel:DWORD dst_unused:UNUSED_PAD src0_sel:WORD_1 src1_sel:WORD_1
	v_sub_f16_sdwa v111, v16, v18 dst_sel:DWORD dst_unused:UNUSED_PAD src0_sel:WORD_1 src1_sel:WORD_1
	v_pk_add_f16 v16, v88, v16
	v_sub_f16_e32 v107, v17, v15
	v_sub_f16_sdwa v108, v17, v15 dst_sel:DWORD dst_unused:UNUSED_PAD src0_sel:WORD_1 src1_sel:WORD_1
	v_add_f16_e32 v56, v15, v11
	v_add_f16_sdwa v148, v15, v11 dst_sel:DWORD dst_unused:UNUSED_PAD src0_sel:WORD_1 src1_sel:WORD_1
	v_sub_f16_sdwa v87, v15, v11 dst_sel:DWORD dst_unused:UNUSED_PAD src0_sel:WORD_1 src1_sel:WORD_1
	v_sub_f16_e32 v82, v15, v11
	v_add_f16_e32 v149, v4, v14
	v_add_f16_sdwa v150, v4, v14 dst_sel:DWORD dst_unused:UNUSED_PAD src0_sel:WORD_1 src1_sel:WORD_1
	v_sub_f16_sdwa v89, v4, v14 dst_sel:DWORD dst_unused:UNUSED_PAD src0_sel:WORD_1 src1_sel:WORD_1
	v_sub_f16_e32 v86, v4, v14
	v_sub_f16_e32 v154, v15, v17
	v_sub_f16_sdwa v156, v15, v17 dst_sel:DWORD dst_unused:UNUSED_PAD src0_sel:WORD_1 src1_sel:WORD_1
	v_sub_f16_sdwa v91, v18, v10 dst_sel:DWORD dst_unused:UNUSED_PAD src0_sel:WORD_1 src1_sel:WORD_1
	v_add_f16_e32 v159, v18, v10
	v_sub_f16_e32 v90, v18, v10
	v_add_f16_sdwa v116, v18, v10 dst_sel:DWORD dst_unused:UNUSED_PAD src0_sel:WORD_1 src1_sel:WORD_1
	v_sub_f16_e32 v160, v10, v12
	v_sub_f16_e32 v121, v12, v10
	v_sub_f16_sdwa v140, v10, v12 dst_sel:DWORD dst_unused:UNUSED_PAD src0_sel:WORD_1 src1_sel:WORD_1
	v_sub_f16_sdwa v117, v12, v10 dst_sel:DWORD dst_unused:UNUSED_PAD src0_sel:WORD_1 src1_sel:WORD_1
	v_pk_add_f16 v18, v19, v5
	v_sub_f16_e32 v119, v5, v3
	v_sub_f16_e32 v115, v3, v5
	v_sub_f16_sdwa v120, v5, v3 dst_sel:DWORD dst_unused:UNUSED_PAD src0_sel:WORD_1 src1_sel:WORD_1
	v_sub_f16_sdwa v113, v3, v5 dst_sel:DWORD dst_unused:UNUSED_PAD src0_sel:WORD_1 src1_sel:WORD_1
	;; [unrolled: 1-line block ×3, first 2 shown]
	v_add_f16_e32 v163, v5, v1
	v_sub_f16_e32 v84, v5, v1
	v_add_f16_sdwa v118, v5, v1 dst_sel:DWORD dst_unused:UNUSED_PAD src0_sel:WORD_1 src1_sel:WORD_1
	v_pk_add_f16 v5, v101, v73
	v_pk_add_f16 v100, v102, v74
	;; [unrolled: 1-line block ×5, first 2 shown]
	v_sub_f16_e32 v106, v9, v11
	v_sub_f16_sdwa v141, v9, v11 dst_sel:DWORD dst_unused:UNUSED_PAD src0_sel:WORD_1 src1_sel:WORD_1
	v_sub_f16_sdwa v93, v17, v9 dst_sel:DWORD dst_unused:UNUSED_PAD src0_sel:WORD_1 src1_sel:WORD_1
	v_sub_f16_e32 v92, v17, v9
	v_sub_f16_sdwa v97, v6, v2 dst_sel:DWORD dst_unused:UNUSED_PAD src0_sel:WORD_1 src1_sel:WORD_1
	v_sub_f16_e32 v96, v6, v2
	v_sub_f16_e32 v153, v11, v9
	v_add_f16_sdwa v155, v17, v9 dst_sel:DWORD dst_unused:UNUSED_PAD src0_sel:WORD_1 src1_sel:WORD_1
	v_sub_f16_sdwa v157, v11, v9 dst_sel:DWORD dst_unused:UNUSED_PAD src0_sel:WORD_1 src1_sel:WORD_1
	v_add_f16_e32 v17, v17, v9
	v_add_f16_e32 v161, v3, v13
	v_sub_f16_sdwa v79, v3, v13 dst_sel:DWORD dst_unused:UNUSED_PAD src0_sel:WORD_1 src1_sel:WORD_1
	v_add_f16_sdwa v112, v3, v13 dst_sel:DWORD dst_unused:UNUSED_PAD src0_sel:WORD_1 src1_sel:WORD_1
	v_sub_f16_e32 v78, v3, v13
	v_add_f16_sdwa v162, v6, v2 dst_sel:DWORD dst_unused:UNUSED_PAD src0_sel:WORD_1 src1_sel:WORD_1
	v_add_f16_e32 v6, v6, v2
	v_sub_f16_e32 v164, v2, v14
	v_sub_f16_sdwa v165, v2, v14 dst_sel:DWORD dst_unused:UNUSED_PAD src0_sel:WORD_1 src1_sel:WORD_1
	v_sub_f16_e32 v166, v14, v2
	v_sub_f16_sdwa v167, v14, v2 dst_sel:DWORD dst_unused:UNUSED_PAD src0_sel:WORD_1 src1_sel:WORD_1
	v_add_f16_e32 v171, v81, v105
	v_sub_f16_sdwa v94, v81, v105 dst_sel:DWORD dst_unused:UNUSED_PAD src0_sel:WORD_1 src1_sel:WORD_1
	v_sub_f16_e32 v132, v74, v81
	v_pk_add_f16 v3, v18, v3
	v_sub_f16_e32 v126, v81, v74
	v_add_f16_sdwa v125, v81, v105 dst_sel:DWORD dst_unused:UNUSED_PAD src0_sel:WORD_1 src1_sel:WORD_1
	v_pk_add_f16 v11, v15, v11
	v_sub_f16_e32 v88, v81, v105
	v_sub_f16_sdwa v134, v74, v81 dst_sel:DWORD dst_unused:UNUSED_PAD src0_sel:WORD_1 src1_sel:WORD_1
	v_pk_add_f16 v5, v5, v80
	v_pk_add_f16 v15, v100, v81
	v_sub_f16_sdwa v129, v81, v74 dst_sel:DWORD dst_unused:UNUSED_PAD src0_sel:WORD_1 src1_sel:WORD_1
	v_pk_add_f16 v128, v4, v14
	v_pk_add_f16 v81, v12, v10
	v_add_f16_e32 v4, v73, v7
	v_add_f16_e32 v14, v74, v8
	v_lshrrev_b32_e32 v12, 16, v20
	v_sub_f16_e32 v124, v1, v13
	v_sub_f16_e32 v122, v13, v1
	v_sub_f16_sdwa v123, v1, v13 dst_sel:DWORD dst_unused:UNUSED_PAD src0_sel:WORD_1 src1_sel:WORD_1
	v_add_f16_sdwa v143, v80, v104 dst_sel:DWORD dst_unused:UNUSED_PAD src0_sel:WORD_1 src1_sel:WORD_1
	v_sub_f16_sdwa v133, v13, v1 dst_sel:DWORD dst_unused:UNUSED_PAD src0_sel:WORD_1 src1_sel:WORD_1
	v_pk_add_f16 v127, v3, v13
	v_pk_add_f16 v83, v11, v9
	v_add_f16_sdwa v145, v73, v7 dst_sel:DWORD dst_unused:UNUSED_PAD src0_sel:WORD_1 src1_sel:WORD_1
	v_sub_f16_sdwa v103, v74, v8 dst_sel:DWORD dst_unused:UNUSED_PAD src0_sel:WORD_1 src1_sel:WORD_1
	v_sub_f16_e32 v100, v74, v8
	v_add_f16_sdwa v135, v74, v8 dst_sel:DWORD dst_unused:UNUSED_PAD src0_sel:WORD_1 src1_sel:WORD_1
	v_pk_add_f16 v131, v5, v104
	v_sub_f16_sdwa v136, v105, v8 dst_sel:DWORD dst_unused:UNUSED_PAD src0_sel:WORD_1 src1_sel:WORD_1
	v_fma_f16 v71, -0.5, v17, v66
	v_lshrrev_b32_e32 v74, 16, v66
	v_fma_f16 v11, -0.5, v149, v20
	v_fma_f16 v13, -0.5, v6, v20
	;; [unrolled: 1-line block ×4, first 2 shown]
	v_lshrrev_b32_e32 v6, 16, v19
	v_fma_f16 v5, -0.5, v4, v101
	v_fma_f16 v19, -0.5, v14, v102
	v_lshrrev_b32_e32 v4, 16, v101
	v_fma_f16 v14, -0.5, v150, v12
	v_fmac_f16_e32 v12, -0.5, v162
	v_sub_f16_e32 v168, v73, v80
	v_sub_f16_sdwa v169, v73, v80 dst_sel:DWORD dst_unused:UNUSED_PAD src0_sel:WORD_1 src1_sel:WORD_1
	v_add_f16_e32 v170, v80, v104
	v_sub_f16_sdwa v99, v80, v104 dst_sel:DWORD dst_unused:UNUSED_PAD src0_sel:WORD_1 src1_sel:WORD_1
	v_sub_f16_e32 v98, v80, v104
	v_sub_f16_e32 v144, v80, v73
	v_sub_f16_sdwa v142, v80, v73 dst_sel:DWORD dst_unused:UNUSED_PAD src0_sel:WORD_1 src1_sel:WORD_1
	v_sub_f16_sdwa v110, v73, v7 dst_sel:DWORD dst_unused:UNUSED_PAD src0_sel:WORD_1 src1_sel:WORD_1
	v_sub_f16_e32 v109, v73, v7
	v_pk_add_f16 v130, v15, v105
	v_sub_f16_e32 v73, v7, v104
	v_sub_f16_sdwa v172, v7, v104 dst_sel:DWORD dst_unused:UNUSED_PAD src0_sel:WORD_1 src1_sel:WORD_1
	v_sub_f16_e32 v147, v104, v7
	v_sub_f16_sdwa v146, v104, v7 dst_sel:DWORD dst_unused:UNUSED_PAD src0_sel:WORD_1 src1_sel:WORD_1
	v_fma_f16 v18, -0.5, v56, v66
	v_lshrrev_b32_e32 v56, 16, v67
	v_fma_f16 v80, -0.5, v148, v74
	v_fmac_f16_e32 v74, -0.5, v155
	v_fma_f16 v143, -0.5, v143, v4
	v_fmac_f16_e32 v4, -0.5, v145
	v_add_f16_e32 v129, v129, v136
	v_fmamk_f16 v136, v89, 0xbb9c, v13
	v_fmac_f16_e32 v13, 0x3b9c, v89
	v_pk_add_f16 v2, v128, v2
	v_pk_add_f16 v1, v127, v1
	v_fmamk_f16 v127, v97, 0x3b9c, v11
	v_fmac_f16_e32 v11, 0xbb9c, v97
	v_fmamk_f16 v128, v86, 0x3b9c, v12
	v_fmac_f16_e32 v12, 0xbb9c, v86
	v_pk_add_f16 v7, v131, v7
	v_fmamk_f16 v131, v87, 0xbb9c, v71
	v_fmac_f16_e32 v71, 0x3b9c, v87
	v_sub_f16_e32 v138, v8, v105
	v_sub_f16_e32 v137, v105, v8
	v_sub_f16_sdwa v139, v8, v105 dst_sel:DWORD dst_unused:UNUSED_PAD src0_sel:WORD_1 src1_sel:WORD_1
	v_fma_f16 v17, -0.5, v159, v67
	v_fma_f16 v3, -0.5, v170, v101
	v_add_f16_e32 v142, v142, v146
	v_fma_f16 v146, -0.5, v68, v56
	v_fmac_f16_e32 v56, -0.5, v116
	v_pk_add_f16 v8, v130, v8
	v_fmamk_f16 v130, v96, 0xbb9c, v14
	v_fmac_f16_e32 v14, 0x3b9c, v96
	v_fmac_f16_e32 v136, 0x38b4, v97
	v_fmac_f16_e32 v13, 0xb8b4, v97
	v_fmamk_f16 v97, v93, 0x3b9c, v18
	v_fmac_f16_e32 v18, 0xbb9c, v93
	v_fmac_f16_e32 v128, 0xb8b4, v96
	v_fmac_f16_e32 v12, 0x38b4, v96
	;; [unrolled: 4-line block ×4, first 2 shown]
	v_fmamk_f16 v89, v98, 0x3b9c, v4
	v_fmac_f16_e32 v4, 0xbb9c, v98
	v_fma_f16 v15, -0.5, v158, v67
	v_lshrrev_b32_e32 v20, 16, v102
	v_fma_f16 v112, -0.5, v112, v6
	v_fmac_f16_e32 v6, -0.5, v118
	v_fmac_f16_e32 v96, 0xb8b4, v92
	v_fmac_f16_e32 v74, 0x38b4, v92
	v_fmamk_f16 v92, v99, 0xbb9c, v5
	v_fmac_f16_e32 v5, 0x3b9c, v99
	v_fmac_f16_e32 v97, 0x38b4, v87
	v_fmac_f16_e32 v18, 0xb8b4, v87
	v_fmamk_f16 v87, v110, 0x3b9c, v3
	v_fmac_f16_e32 v3, 0xbb9c, v110
	v_fmac_f16_e32 v130, 0xb8b4, v86
	v_fmac_f16_e32 v14, 0x38b4, v86
	v_fmamk_f16 v86, v109, 0xbb9c, v143
	v_fmac_f16_e32 v143, 0x3b9c, v109
	v_fmac_f16_e32 v93, 0xb8b4, v82
	v_fmac_f16_e32 v80, 0x38b4, v82
	v_fmamk_f16 v82, v70, 0xbb9c, v17
	v_fmac_f16_e32 v17, 0x3b9c, v70
	v_fmac_f16_e32 v89, 0xb8b4, v109
	v_fmac_f16_e32 v4, 0x38b4, v109
	v_fmamk_f16 v109, v69, 0x3b9c, v56
	v_fmac_f16_e32 v56, 0xbb9c, v69
	v_add_f16_e32 v148, v168, v73
	v_or_b32_e32 v73, 0x80, v25
	v_fma_f16 v16, -0.5, v171, v102
	v_fma_f16 v125, -0.5, v125, v20
	v_fmac_f16_e32 v20, -0.5, v135
	v_fmac_f16_e32 v92, 0x38b4, v110
	v_fmac_f16_e32 v5, 0xb8b4, v110
	v_fmamk_f16 v110, v91, 0x3b9c, v15
	v_fmac_f16_e32 v15, 0xbb9c, v91
	v_fmac_f16_e32 v82, 0x38b4, v91
	v_fmac_f16_e32 v17, 0xb8b4, v91
	v_fmamk_f16 v91, v90, 0xbb9c, v146
	v_fmac_f16_e32 v146, 0x3b9c, v90
	v_fmac_f16_e32 v109, 0xb8b4, v90
	v_fmac_f16_e32 v56, 0x38b4, v90
	v_fmamk_f16 v90, v79, 0xbb9c, v10
	v_fmac_f16_e32 v10, 0x3b9c, v79
	v_fmac_f16_e32 v87, 0x38b4, v99
	v_fmac_f16_e32 v3, 0xb8b4, v99
	v_fmamk_f16 v99, v78, 0x3b9c, v6
	v_fmac_f16_e32 v6, 0xbb9c, v78
	v_add_f16_e32 v105, v107, v106
	v_add_f16_e32 v106, v151, v166
	;; [unrolled: 1-line block ×3, first 2 shown]
	v_and_b32_e32 v77, 0xff, v73
	v_add_f16_e32 v134, v134, v139
	v_fmamk_f16 v139, v94, 0xbb9c, v19
	v_fmac_f16_e32 v19, 0x3b9c, v94
	v_add_f16_e32 v126, v126, v137
	v_fmamk_f16 v137, v85, 0x3b9c, v9
	v_fmac_f16_e32 v9, 0xbb9c, v85
	v_fmac_f16_e32 v86, 0xb8b4, v98
	;; [unrolled: 1-line block ×3, first 2 shown]
	v_fmamk_f16 v98, v84, 0xbb9c, v112
	v_fmac_f16_e32 v112, 0x3b9c, v84
	v_fmac_f16_e32 v90, 0x38b4, v85
	;; [unrolled: 1-line block ×3, first 2 shown]
	v_fmamk_f16 v85, v103, 0x3b9c, v16
	v_fmac_f16_e32 v99, 0xb8b4, v84
	v_fmac_f16_e32 v6, 0x38b4, v84
	v_fmamk_f16 v84, v88, 0x3b9c, v20
	v_fmac_f16_e32 v20, 0xbb9c, v88
	v_mul_lo_u16 v67, 0xcd, v77
	v_fmac_f16_e32 v16, 0xbb9c, v103
	v_fmac_f16_e32 v139, 0x38b4, v103
	;; [unrolled: 1-line block ×3, first 2 shown]
	v_fmamk_f16 v103, v100, 0xbb9c, v125
	v_fmac_f16_e32 v125, 0x3b9c, v100
	v_add_f16_e32 v102, v108, v141
	v_add_f16_e32 v107, v154, v153
	;; [unrolled: 1-line block ×6, first 2 shown]
	v_fmac_f16_e32 v110, 0x38b4, v70
	v_fmac_f16_e32 v20, 0x38b4, v100
	;; [unrolled: 1-line block ×3, first 2 shown]
	v_add_f16_e32 v111, v111, v117
	v_lshrrev_b16 v67, 11, v67
	v_fmac_f16_e32 v15, 0xb8b4, v70
	v_fmac_f16_e32 v146, 0x38b4, v69
	;; [unrolled: 1-line block ×6, first 2 shown]
	v_add_f16_e32 v104, v76, v164
	v_add_f16_e32 v101, v95, v165
	v_fmac_f16_e32 v131, 0x34f2, v107
	v_fmac_f16_e32 v71, 0x34f2, v107
	;; [unrolled: 1-line block ×6, first 2 shown]
	v_add_f16_e32 v108, v152, v167
	v_add_f16_e32 v120, v120, v123
	v_fmac_f16_e32 v91, 0xb8b4, v69
	v_fmac_f16_e32 v98, 0xb8b4, v78
	;; [unrolled: 1-line block ×8, first 2 shown]
	v_add_f16_e32 v119, v119, v124
	v_add_f16_e32 v115, v115, v122
	;; [unrolled: 1-line block ×3, first 2 shown]
	v_mul_lo_u16 v135, v67, 10
	v_fmac_f16_e32 v137, 0x38b4, v79
	v_fmac_f16_e32 v9, 0xb8b4, v79
	;; [unrolled: 1-line block ×3, first 2 shown]
	v_pk_add_f16 v78, v2, v83
	v_pk_add_f16 v2, v2, v83 neg_lo:[0,1] neg_hi:[0,1]
	v_fmac_f16_e32 v82, 0x34f2, v114
	v_fmac_f16_e32 v109, 0x34f2, v111
	;; [unrolled: 1-line block ×5, first 2 shown]
	v_pk_add_f16 v83, v7, v81
	v_pk_add_f16 v7, v7, v81 neg_lo:[0,1] neg_hi:[0,1]
	v_fmac_f16_e32 v139, 0x34f2, v126
	v_fmac_f16_e32 v19, 0x34f2, v126
	;; [unrolled: 1-line block ×4, first 2 shown]
	v_pk_add_f16 v81, v1, v8
	v_fmac_f16_e32 v125, 0x34f2, v134
	v_pk_add_f16 v1, v1, v8 neg_lo:[0,1] neg_hi:[0,1]
	v_mul_f16_e32 v8, 0x3a79, v97
	v_mul_f16_e32 v88, 0xb8b4, v97
	v_fmac_f16_e32 v136, 0x34f2, v106
	v_fmac_f16_e32 v13, 0x34f2, v106
	;; [unrolled: 1-line block ×6, first 2 shown]
	v_mul_f16_e32 v97, 0x34f2, v71
	v_mul_f16_e32 v101, 0x34f2, v74
	;; [unrolled: 1-line block ×6, first 2 shown]
	v_add_f16_e32 v149, v169, v172
	v_add_f16_e32 v144, v144, v147
	v_fmac_f16_e32 v128, 0x34f2, v108
	v_fmac_f16_e32 v12, 0x34f2, v108
	;; [unrolled: 1-line block ×6, first 2 shown]
	v_mul_f16_e32 v107, 0x3a79, v110
	v_mul_f16_e32 v108, 0xb8b4, v110
	;; [unrolled: 1-line block ×6, first 2 shown]
	v_mul_u32_u24_e32 v66, 10, v25
	v_and_b32_e32 v76, 0xff, v25
	v_sub_nc_u16 v69, v73, v135
	v_fmac_f16_e32 v90, 0x34f2, v115
	v_fmac_f16_e32 v10, 0x34f2, v115
	;; [unrolled: 1-line block ×6, first 2 shown]
	v_mul_f16_e32 v111, 0x34f2, v56
	v_mul_f16_e32 v113, 0x3b9c, v109
	;; [unrolled: 1-line block ×10, first 2 shown]
	v_fmac_f16_e32 v8, 0x38b4, v93
	v_fmac_f16_e32 v88, 0x3a79, v93
	v_fma_f16 v74, v74, 0x3b9c, -v97
	v_fma_f16 v71, v71, 0xbb9c, -v101
	v_fmac_f16_e32 v102, 0x34f2, v131
	v_fmac_f16_e32 v104, 0x34f2, v96
	v_fma_f16 v80, v80, 0x38b4, -v105
	v_fma_f16 v18, v18, 0xb8b4, -v106
	v_fmac_f16_e32 v5, 0x34f2, v144
	v_fmac_f16_e32 v87, 0x34f2, v148
	;; [unrolled: 1-line block ×5, first 2 shown]
	v_fma_f16 v56, v56, 0x3b9c, -v110
	v_fmac_f16_e32 v120, 0x38b4, v103
	v_fmac_f16_e32 v85, 0x3a79, v103
	v_fma_f16 v19, v19, 0xbb9c, -v129
	v_lshl_add_u32 v152, v66, 2, 0
	v_mul_lo_u16 v66, 0xcd, v76
	v_fmac_f16_e32 v92, 0x34f2, v144
	v_fmac_f16_e32 v89, 0x34f2, v142
	;; [unrolled: 1-line block ×5, first 2 shown]
	v_fma_f16 v17, v17, 0xbb9c, -v111
	v_fmac_f16_e32 v113, 0x34f2, v82
	v_fmac_f16_e32 v114, 0x34f2, v109
	v_fma_f16 v82, v146, 0x38b4, -v115
	v_fma_f16 v15, v15, 0xb8b4, -v119
	;; [unrolled: 1-line block ×3, first 2 shown]
	v_fmac_f16_e32 v132, 0x34f2, v139
	v_fmac_f16_e32 v134, 0x34f2, v84
	v_fma_f16 v84, v125, 0x38b4, -v135
	v_fma_f16 v16, v16, 0xb8b4, -v141
	v_add_f16_e32 v91, v127, v8
	v_add_f16_e32 v97, v130, v88
	;; [unrolled: 1-line block ×5, first 2 shown]
	v_sub_f16_e32 v13, v13, v74
	v_add_f16_e32 v74, v11, v80
	v_sub_f16_e32 v11, v11, v80
	v_add_f16_e32 v80, v14, v18
	;; [unrolled: 2-line block ×3, first 2 shown]
	v_sub_f16_e32 v8, v127, v8
	v_sub_f16_e32 v96, v136, v102
	;; [unrolled: 1-line block ×5, first 2 shown]
	v_add_f16_e32 v71, v137, v120
	v_add_f16_e32 v106, v98, v85
	;; [unrolled: 1-line block ×3, first 2 shown]
	v_sub_f16_e32 v6, v6, v19
	v_add_f16_e32 v19, v87, v107
	v_add_f16_e32 v111, v5, v56
	v_sub_f16_e32 v5, v5, v56
	v_add_f16_e32 v56, v86, v108
	v_or_b32_e32 v75, 0x100, v25
	v_mov_b32_e32 v140, 0xcccd
	v_add_nc_u32_e32 v121, 0x1400, v152
	v_lshrrev_b16 v66, 11, v66
	v_sub_f16_e32 v104, v137, v120
	v_add_f16_e32 v105, v90, v132
	v_sub_f16_e32 v90, v90, v132
	v_sub_f16_e32 v85, v98, v85
	v_add_f16_e32 v98, v99, v134
	v_sub_f16_e32 v99, v99, v134
	v_add_f16_e32 v109, v10, v20
	;; [unrolled: 2-line block ×4, first 2 shown]
	v_sub_f16_e32 v16, v112, v16
	v_sub_f16_e32 v87, v87, v107
	v_add_f16_e32 v107, v92, v113
	v_sub_f16_e32 v92, v92, v113
	v_sub_f16_e32 v86, v86, v108
	v_add_f16_e32 v108, v89, v114
	v_sub_f16_e32 v89, v89, v114
	v_add_f16_e32 v112, v3, v82
	;; [unrolled: 2-line block ×4, first 2 shown]
	v_sub_f16_e32 v15, v143, v15
	v_pack_b32_f16 v91, v91, v97
	v_add_nc_u32_e32 v116, 0x1408, v152
	v_pack_b32_f16 v18, v103, v18
	v_pack_b32_f16 v93, v93, v101
	v_add_nc_u32_e32 v117, 0x1410, v152
	v_pack_b32_f16 v74, v74, v80
	v_add_nc_u32_e32 v124, 0x1418, v152
	v_pack_b32_f16 v8, v8, v88
	v_pack_b32_f16 v80, v96, v102
	v_add_nc_u32_e32 v123, 0x1420, v152
	v_pack_b32_f16 v11, v11, v14
	v_pack_b32_f16 v12, v13, v12
	;; [unrolled: 1-line block ×4, first 2 shown]
	v_mul_u32_u24_sdwa v145, v75, v140 dst_sel:DWORD dst_unused:UNUSED_PAD src0_sel:WORD_0 src1_sel:DWORD
	v_add_nc_u32_e32 v138, 0x2800, v152
	v_add_nc_u32_e32 v122, 0x2808, v152
	v_mul_lo_u16 v68, v66, 10
	v_add_nc_u32_e32 v118, 0x2810, v152
	v_add_nc_u32_e32 v133, 0x2818, v152
	v_add_nc_u32_e32 v94, 0x2820, v152
	v_pack_b32_f16 v14, v111, v82
	v_pack_b32_f16 v19, v107, v108
	v_pack_b32_f16 v17, v112, v17
	v_pack_b32_f16 v71, v109, v110
	v_pack_b32_f16 v82, v105, v98
	v_pack_b32_f16 v20, v20, v84
	v_pack_b32_f16 v84, v104, v85
	v_pack_b32_f16 v85, v90, v99
	v_pack_b32_f16 v9, v9, v16
	v_pack_b32_f16 v6, v10, v6
	v_pack_b32_f16 v10, v87, v86
	v_pack_b32_f16 v16, v92, v89
	v_pack_b32_f16 v3, v3, v15
	v_pack_b32_f16 v4, v5, v4
	ds_write2_b32 v121, v78, v91 offset1:1
	ds_write2_b32 v116, v93, v18 offset1:1
	ds_write2_b32 v117, v74, v2 offset1:1
	ds_write2_b32 v124, v8, v80 offset1:1
	ds_write2_b32 v123, v12, v11 offset1:1
	ds_write2_b32 v138, v83, v13 offset1:1
	ds_write2_b32 v122, v19, v14 offset1:1
	ds_write2_b32 v118, v17, v7 offset1:1
	ds_write2_b32 v152, v81, v56 offset1:1
	ds_write2_b32 v152, v82, v71 offset0:2 offset1:3
	ds_write2_b32 v152, v20, v1 offset0:4 offset1:5
	;; [unrolled: 1-line block ×4, first 2 shown]
	ds_write2_b32 v133, v10, v16 offset1:1
	ds_write2_b32 v94, v4, v3 offset1:1
	v_or_b32_e32 v56, 0x180, v25
	v_mov_b32_e32 v95, 5
	v_sub_nc_u16 v68, v25, v68
	v_lshrrev_b32_e32 v70, 19, v145
	v_mul_u32_u24_sdwa v13, v61, v140 dst_sel:DWORD dst_unused:UNUSED_PAD src0_sel:WORD_0 src1_sel:DWORD
	v_mul_u32_u24_sdwa v9, v56, v140 dst_sel:DWORD dst_unused:UNUSED_PAD src0_sel:WORD_0 src1_sel:DWORD
	v_mul_u32_u24_sdwa v79, v69, v95 dst_sel:DWORD dst_unused:UNUSED_PAD src0_sel:BYTE_0 src1_sel:DWORD
	v_mul_u32_u24_sdwa v100, v68, v95 dst_sel:DWORD dst_unused:UNUSED_PAD src0_sel:BYTE_0 src1_sel:DWORD
	v_mul_lo_u16 v5, v70, 10
	v_lshrrev_b32_e32 v78, 19, v13
	v_lshrrev_b32_e32 v82, 19, v9
	s_waitcnt lgkmcnt(0)
	v_lshlrev_b32_e32 v100, 2, v100
	v_sub_nc_u16 v71, v75, v5
	s_barrier
	v_mul_lo_u16 v10, v82, 10
	buffer_gl0_inv
	global_load_dwordx4 v[1:4], v100, s[12:13]
	v_lshlrev_b32_e32 v81, 2, v79
	v_mul_u32_u24_sdwa v9, v71, v95 dst_sel:DWORD dst_unused:UNUSED_PAD src0_sel:WORD_0 src1_sel:DWORD
	v_sub_nc_u16 v83, v56, v10
	v_mul_lo_u16 v14, v78, 10
	v_mul_u32_u24_e32 v70, 0xf0, v70
	global_load_dwordx4 v[5:8], v81, s[12:13]
	v_lshlrev_b32_e32 v84, 2, v9
	v_mul_u32_u24_sdwa v13, v83, v95 dst_sel:DWORD dst_unused:UNUSED_PAD src0_sel:WORD_0 src1_sel:DWORD
	v_sub_nc_u16 v79, v61, v14
	global_load_dwordx4 v[9:12], v84, s[12:13]
	v_lshlrev_b32_e32 v74, 2, v13
	v_mul_u32_u24_sdwa v17, v79, v95 dst_sel:DWORD dst_unused:UNUSED_PAD src0_sel:WORD_0 src1_sel:DWORD
	global_load_dwordx4 v[13:16], v74, s[12:13]
	v_lshlrev_b32_e32 v85, 2, v17
	s_clause 0x5
	global_load_dwordx4 v[17:20], v85, s[12:13]
	global_load_dword v80, v100, s[12:13] offset:16
	global_load_dword v81, v81, s[12:13] offset:16
	global_load_dword v86, v84, s[12:13] offset:16
	global_load_dword v87, v74, s[12:13] offset:16
	global_load_dword v112, v85, s[12:13] offset:16
	v_mov_b32_e32 v84, 0xf0
	v_mov_b32_e32 v74, 2
	v_mul_u32_u24_e32 v85, 0xf0, v82
	v_mul_u32_u24_sdwa v66, v66, v84 dst_sel:DWORD dst_unused:UNUSED_PAD src0_sel:WORD_0 src1_sel:DWORD
	v_lshlrev_b32_sdwa v68, v74, v68 dst_sel:DWORD dst_unused:UNUSED_PAD src0_sel:DWORD src1_sel:BYTE_0
	v_mul_u32_u24_sdwa v94, v67, v84 dst_sel:DWORD dst_unused:UNUSED_PAD src0_sel:WORD_0 src1_sel:DWORD
	v_lshlrev_b32_sdwa v71, v74, v71 dst_sel:DWORD dst_unused:UNUSED_PAD src0_sel:DWORD src1_sel:WORD_0
	v_lshlrev_b32_sdwa v83, v74, v83 dst_sel:DWORD dst_unused:UNUSED_PAD src0_sel:DWORD src1_sel:WORD_0
	v_add3_u32 v84, 0, v66, v68
	ds_read2st64_b32 v[66:67], v72 offset0:8 offset1:10
	ds_read2st64_b32 v[88:89], v72 offset0:20 offset1:22
	;; [unrolled: 1-line block ×4, first 2 shown]
	v_lshlrev_b32_sdwa v68, v74, v69 dst_sel:DWORD dst_unused:UNUSED_PAD src0_sel:DWORD src1_sel:BYTE_0
	v_add3_u32 v82, 0, v70, v71
	v_add3_u32 v83, 0, v85, v83
	;; [unrolled: 1-line block ×3, first 2 shown]
	ds_read2st64_b32 v[94:95], v72 offset0:12 offset1:14
	ds_read2st64_b32 v[96:97], v72 offset0:32 offset1:34
	;; [unrolled: 1-line block ×9, first 2 shown]
	ds_read2st64_b32 v[68:69], v72 offset1:2
	ds_read2st64_b32 v[70:71], v72 offset0:4 offset1:6
	s_waitcnt vmcnt(0) lgkmcnt(0)
	s_barrier
	buffer_gl0_inv
	v_lshrrev_b32_e32 v113, 16, v67
	v_lshrrev_b32_e32 v114, 16, v88
	;; [unrolled: 1-line block ×30, first 2 shown]
	v_mul_f16_sdwa v143, v1, v67 dst_sel:DWORD dst_unused:UNUSED_PAD src0_sel:WORD_1 src1_sel:DWORD
	v_mul_f16_sdwa v145, v88, v2 dst_sel:DWORD dst_unused:UNUSED_PAD src0_sel:DWORD src1_sel:WORD_1
	v_mul_f16_sdwa v147, v91, v3 dst_sel:DWORD dst_unused:UNUSED_PAD src0_sel:DWORD src1_sel:WORD_1
	v_mul_f16_sdwa v144, v1, v113 dst_sel:DWORD dst_unused:UNUSED_PAD src0_sel:WORD_1 src1_sel:DWORD
	v_mul_f16_sdwa v146, v114, v2 dst_sel:DWORD dst_unused:UNUSED_PAD src0_sel:DWORD src1_sel:WORD_1
	v_mul_f16_sdwa v148, v92, v4 dst_sel:DWORD dst_unused:UNUSED_PAD src0_sel:DWORD src1_sel:WORD_1
	;; [unrolled: 1-line block ×3, first 2 shown]
	v_fmac_f16_e32 v143, v1, v113
	v_mul_f16_sdwa v113, v116, v4 dst_sel:DWORD dst_unused:UNUSED_PAD src0_sel:DWORD src1_sel:WORD_1
	v_fmac_f16_e32 v145, v114, v2
	v_mul_f16_sdwa v114, v117, v6 dst_sel:DWORD dst_unused:UNUSED_PAD src0_sel:DWORD src1_sel:WORD_1
	;; [unrolled: 2-line block ×4, first 2 shown]
	v_fma_f16 v1, v1, v67, -v144
	v_fma_f16 v2, v88, v2, -v146
	v_fma_f16 v3, v91, v3, -v149
	v_fma_f16 v4, v92, v4, -v113
	v_mul_f16_sdwa v67, v93, v8 dst_sel:DWORD dst_unused:UNUSED_PAD src0_sel:DWORD src1_sel:WORD_1
	v_mul_f16_sdwa v88, v94, v5 dst_sel:DWORD dst_unused:UNUSED_PAD src0_sel:DWORD src1_sel:WORD_1
	;; [unrolled: 1-line block ×4, first 2 shown]
	v_fma_f16 v89, v89, v6, -v114
	v_mul_f16_sdwa v113, v120, v7 dst_sel:DWORD dst_unused:UNUSED_PAD src0_sel:DWORD src1_sel:WORD_1
	v_mul_f16_sdwa v114, v121, v9 dst_sel:DWORD dst_unused:UNUSED_PAD src0_sel:DWORD src1_sel:WORD_1
	v_fma_f16 v93, v93, v8, -v115
	v_mul_f16_sdwa v115, v122, v11 dst_sel:DWORD dst_unused:UNUSED_PAD src0_sel:DWORD src1_sel:WORD_1
	v_mul_f16_sdwa v144, v95, v9 dst_sel:DWORD dst_unused:UNUSED_PAD src0_sel:DWORD src1_sel:WORD_1
	v_fmac_f16_e32 v116, v117, v6
	v_mul_f16_sdwa v6, v97, v11 dst_sel:DWORD dst_unused:UNUSED_PAD src0_sel:DWORD src1_sel:WORD_1
	v_fmac_f16_e32 v67, v118, v8
	;; [unrolled: 2-line block ×4, first 2 shown]
	v_mul_f16_sdwa v118, v123, v10 dst_sel:DWORD dst_unused:UNUSED_PAD src0_sel:DWORD src1_sel:WORD_1
	v_fma_f16 v5, v94, v5, -v91
	v_fma_f16 v7, v96, v7, -v113
	v_mul_f16_sdwa v91, v124, v12 dst_sel:DWORD dst_unused:UNUSED_PAD src0_sel:DWORD src1_sel:WORD_1
	v_mul_f16_sdwa v94, v125, v14 dst_sel:DWORD dst_unused:UNUSED_PAD src0_sel:DWORD src1_sel:WORD_1
	;; [unrolled: 1-line block ×3, first 2 shown]
	v_fma_f16 v95, v95, v9, -v114
	v_mul_f16_sdwa v119, v102, v13 dst_sel:DWORD dst_unused:UNUSED_PAD src0_sel:DWORD src1_sel:WORD_1
	v_fma_f16 v97, v97, v11, -v115
	v_mul_f16_sdwa v115, v127, v13 dst_sel:DWORD dst_unused:UNUSED_PAD src0_sel:DWORD src1_sel:WORD_1
	v_mul_f16_sdwa v120, v104, v15 dst_sel:DWORD dst_unused:UNUSED_PAD src0_sel:DWORD src1_sel:WORD_1
	v_fmac_f16_e32 v144, v121, v9
	v_mul_f16_sdwa v9, v128, v15 dst_sel:DWORD dst_unused:UNUSED_PAD src0_sel:DWORD src1_sel:WORD_1
	v_mul_f16_sdwa v96, v126, v16 dst_sel:DWORD dst_unused:UNUSED_PAD src0_sel:DWORD src1_sel:WORD_1
	;; [unrolled: 1-line block ×3, first 2 shown]
	v_fmac_f16_e32 v6, v122, v11
	v_mul_f16_sdwa v11, v129, v17 dst_sel:DWORD dst_unused:UNUSED_PAD src0_sel:DWORD src1_sel:WORD_1
	v_fmac_f16_e32 v8, v123, v10
	v_mul_f16_sdwa v121, v103, v17 dst_sel:DWORD dst_unused:UNUSED_PAD src0_sel:DWORD src1_sel:WORD_1
	;; [unrolled: 2-line block ×3, first 2 shown]
	v_fma_f16 v10, v98, v10, -v118
	v_fma_f16 v12, v100, v12, -v91
	v_mul_f16_sdwa v98, v131, v19 dst_sel:DWORD dst_unused:UNUSED_PAD src0_sel:DWORD src1_sel:WORD_1
	v_mul_f16_sdwa v100, v105, v19 dst_sel:DWORD dst_unused:UNUSED_PAD src0_sel:DWORD src1_sel:WORD_1
	v_fma_f16 v94, v99, v14, -v94
	v_mul_f16_sdwa v99, v132, v20 dst_sel:DWORD dst_unused:UNUSED_PAD src0_sel:DWORD src1_sel:WORD_1
	v_mul_f16_sdwa v124, v108, v81 dst_sel:DWORD dst_unused:UNUSED_PAD src0_sel:DWORD src1_sel:WORD_1
	v_fmac_f16_e32 v113, v125, v14
	v_mul_f16_sdwa v14, v134, v81 dst_sel:DWORD dst_unused:UNUSED_PAD src0_sel:DWORD src1_sel:WORD_1
	v_fmac_f16_e32 v119, v127, v13
	v_fmac_f16_e32 v120, v128, v15
	v_fma_f16 v13, v102, v13, -v115
	v_fma_f16 v9, v104, v15, -v9
	v_mul_f16_sdwa v15, v136, v87 dst_sel:DWORD dst_unused:UNUSED_PAD src0_sel:DWORD src1_sel:WORD_1
	v_mul_f16_sdwa v102, v137, v112 dst_sel:DWORD dst_unused:UNUSED_PAD src0_sel:DWORD src1_sel:WORD_1
	;; [unrolled: 1-line block ×6, first 2 shown]
	v_fma_f16 v96, v101, v16, -v96
	v_mul_f16_sdwa v101, v107, v80 dst_sel:DWORD dst_unused:UNUSED_PAD src0_sel:DWORD src1_sel:WORD_1
	v_fmac_f16_e32 v114, v126, v16
	v_mul_f16_sdwa v16, v135, v86 dst_sel:DWORD dst_unused:UNUSED_PAD src0_sel:DWORD src1_sel:WORD_1
	v_mul_f16_sdwa v125, v109, v86 dst_sel:DWORD dst_unused:UNUSED_PAD src0_sel:DWORD src1_sel:WORD_1
	;; [unrolled: 1-line block ×3, first 2 shown]
	v_fma_f16 v11, v103, v17, -v11
	v_fma_f16 v90, v90, v18, -v122
	;; [unrolled: 1-line block ×3, first 2 shown]
	v_fmac_f16_e32 v121, v129, v17
	v_fmac_f16_e32 v100, v131, v19
	v_fma_f16 v17, v106, v20, -v99
	v_fmac_f16_e32 v124, v134, v81
	v_fma_f16 v14, v108, v81, -v14
	v_fma_f16 v19, v111, v112, -v102
	;; [unrolled: 1-line block ×3, first 2 shown]
	v_fmac_f16_e32 v104, v137, v112
	v_fmac_f16_e32 v91, v130, v18
	;; [unrolled: 1-line block ×3, first 2 shown]
	v_fma_f16 v18, v107, v80, -v123
	v_fmac_f16_e32 v101, v133, v80
	v_fma_f16 v16, v109, v86, -v16
	v_fmac_f16_e32 v125, v135, v86
	v_fmac_f16_e32 v126, v136, v87
	v_add_f16_e32 v20, v90, v17
	v_add_f16_e32 v81, v98, v19
	;; [unrolled: 1-line block ×14, first 2 shown]
	v_sub_f16_e32 v110, v116, v67
	v_add_f16_e32 v111, v2, v4
	v_add_f16_e32 v112, v68, v2
	;; [unrolled: 1-line block ×6, first 2 shown]
	v_sub_f16_e32 v130, v113, v114
	v_add_f16_e32 v131, v10, v12
	v_add_f16_e32 v132, v70, v10
	;; [unrolled: 1-line block ×3, first 2 shown]
	v_sub_f16_e32 v134, v145, v148
	v_add_f16_e32 v135, v145, v148
	v_add_f16_e32 v136, v1, v3
	;; [unrolled: 1-line block ×5, first 2 shown]
	v_fmac_f16_e32 v66, -0.5, v20
	v_add_f16_e32 v20, v139, v116
	v_add_f16_e32 v116, v116, v67
	v_fmac_f16_e32 v11, -0.5, v81
	v_add_f16_e32 v81, v142, v8
	v_fmac_f16_e32 v121, -0.5, v87
	v_sub_f16_e32 v87, v8, v117
	v_add_f16_e32 v8, v8, v117
	v_fmac_f16_e32 v69, -0.5, v103
	v_add_f16_e32 v103, v95, v97
	v_fmac_f16_e32 v5, -0.5, v106
	v_add_f16_e32 v106, v97, v16
	v_fmac_f16_e32 v88, -0.5, v108
	v_add_f16_e32 v108, v144, v6
	v_fmac_f16_e32 v71, -0.5, v115
	v_add_f16_e32 v115, v6, v125
	v_fmac_f16_e32 v13, -0.5, v123
	v_add_f16_e32 v123, v141, v113
	v_add_f16_e32 v113, v113, v114
	v_sub_f16_e32 v102, v91, v118
	v_sub_f16_e32 v100, v100, v104
	;; [unrolled: 1-line block ×15, first 2 shown]
	v_fmac_f16_e32 v119, -0.5, v128
	v_add_f16_e32 v128, v138, v91
	v_add_f16_e32 v91, v91, v118
	v_fma_f16 v68, -0.5, v111, v68
	v_fma_f16 v70, -0.5, v131, v70
	v_add_f16_e32 v4, v112, v4
	v_add_f16_e32 v111, v133, v148
	;; [unrolled: 1-line block ×4, first 2 shown]
	v_fmac_f16_e32 v140, -0.5, v135
	v_fmac_f16_e32 v1, -0.5, v137
	;; [unrolled: 1-line block ×3, first 2 shown]
	v_add_f16_e32 v20, v20, v67
	v_add_f16_e32 v14, v107, v14
	;; [unrolled: 1-line block ×4, first 2 shown]
	v_fmac_f16_e32 v139, -0.5, v116
	v_add_f16_e32 v12, v132, v12
	v_add_f16_e32 v81, v81, v117
	;; [unrolled: 1-line block ×4, first 2 shown]
	v_fmac_f16_e32 v142, -0.5, v8
	v_fmac_f16_e32 v95, -0.5, v106
	;; [unrolled: 1-line block ×3, first 2 shown]
	v_add_f16_e32 v8, v123, v114
	v_add_f16_e32 v15, v127, v15
	;; [unrolled: 1-line block ×4, first 2 shown]
	v_fmac_f16_e32 v141, -0.5, v113
	v_fmac_f16_e32 v138, -0.5, v91
	v_fmamk_f16 v91, v102, 0x3aee, v66
	v_fmac_f16_e32 v66, 0xbaee, v102
	v_fmamk_f16 v102, v100, 0x3aee, v11
	v_fmac_f16_e32 v11, 0xbaee, v100
	;; [unrolled: 2-line block ×6, first 2 shown]
	v_fmamk_f16 v110, v147, 0x3aee, v1
	v_fmamk_f16 v112, v2, 0xbaee, v140
	v_fmac_f16_e32 v140, 0x3aee, v2
	v_fmamk_f16 v2, v3, 0xbaee, v143
	v_fmac_f16_e32 v143, 0x3aee, v3
	v_add_f16_e32 v3, v4, v18
	v_sub_f16_e32 v4, v4, v18
	v_add_f16_e32 v18, v111, v101
	v_sub_f16_e32 v101, v111, v101
	v_fmamk_f16 v111, v89, 0xbaee, v139
	v_fmac_f16_e32 v139, 0x3aee, v89
	v_add_f16_e32 v89, v93, v14
	v_sub_f16_e32 v14, v93, v14
	v_add_f16_e32 v93, v20, v67
	v_sub_f16_e32 v20, v20, v67
	v_fmamk_f16 v67, v87, 0x3aee, v70
	v_fmac_f16_e32 v70, 0xbaee, v87
	v_fmamk_f16 v87, v6, 0x3aee, v95
	v_fmac_f16_e32 v95, 0xbaee, v6
	;; [unrolled: 2-line block ×4, first 2 shown]
	v_add_f16_e32 v97, v12, v16
	v_sub_f16_e32 v12, v12, v16
	v_add_f16_e32 v16, v81, v103
	v_sub_f16_e32 v81, v81, v103
	v_fmamk_f16 v103, v94, 0xbaee, v141
	v_fmac_f16_e32 v141, 0x3aee, v94
	v_add_f16_e32 v94, v96, v15
	v_sub_f16_e32 v15, v96, v15
	v_add_f16_e32 v96, v8, v105
	v_sub_f16_e32 v8, v8, v105
	v_fmac_f16_e32 v1, 0xbaee, v147
	v_fmamk_f16 v92, v7, 0xbaee, v88
	v_fmac_f16_e32 v88, 0x3aee, v7
	v_fmamk_f16 v109, v9, 0xbaee, v119
	v_fmac_f16_e32 v119, 0x3aee, v9
	v_mul_f16_e32 v105, -0.5, v11
	v_mul_f16_e32 v113, -0.5, v5
	;; [unrolled: 1-line block ×3, first 2 shown]
	v_pack_b32_f16 v12, v12, v81
	v_pack_b32_f16 v8, v15, v8
	v_mul_f16_e32 v15, 0x3aee, v2
	v_mul_f16_e32 v81, 0xbaee, v110
	v_pack_b32_f16 v3, v3, v18
	v_pack_b32_f16 v18, v89, v93
	v_mul_f16_e32 v89, -0.5, v1
	v_mul_f16_e32 v93, -0.5, v143
	v_pack_b32_f16 v14, v14, v20
	v_pack_b32_f16 v20, v94, v96
	v_mul_f16_e32 v94, 0x3aee, v92
	v_mul_f16_e32 v96, 0xbaee, v107
	v_pack_b32_f16 v16, v97, v16
	v_mul_f16_e32 v97, -0.5, v88
	v_add_f16_e32 v106, v128, v118
	v_fmamk_f16 v7, v130, 0x3aee, v71
	v_fmac_f16_e32 v71, 0xbaee, v130
	v_fmamk_f16 v9, v134, 0x3aee, v68
	v_pack_b32_f16 v4, v4, v101
	v_mul_f16_e32 v101, 0x3aee, v10
	v_mul_f16_e32 v115, 0xbaee, v87
	v_mul_f16_e32 v116, -0.5, v95
	v_mul_f16_e32 v117, -0.5, v144
	v_mul_f16_e32 v118, 0x3aee, v109
	v_mul_f16_e32 v120, 0xbaee, v108
	v_mul_f16_e32 v122, -0.5, v119
	v_fmac_f16_e32 v105, 0x3aee, v121
	v_fmac_f16_e32 v113, 0x3aee, v88
	;; [unrolled: 1-line block ×3, first 2 shown]
	v_fmac_f16_e32 v15, 0.5, v110
	v_fmac_f16_e32 v81, 0.5, v2
	v_fmac_f16_e32 v68, 0xbaee, v134
	v_fmac_f16_e32 v89, 0x3aee, v143
	;; [unrolled: 1-line block ×3, first 2 shown]
	v_fmac_f16_e32 v94, 0.5, v107
	v_fmac_f16_e32 v96, 0.5, v92
	v_fmac_f16_e32 v97, 0xbaee, v5
	v_fmac_f16_e32 v101, 0.5, v87
	v_fmac_f16_e32 v115, 0.5, v10
	v_fmac_f16_e32 v116, 0x3aee, v144
	v_fmac_f16_e32 v117, 0xbaee, v95
	v_fmac_f16_e32 v118, 0.5, v108
	v_fmac_f16_e32 v120, 0.5, v109
	v_fmac_f16_e32 v122, 0xbaee, v13
	v_add_f16_e32 v2, v66, v105
	v_sub_f16_e32 v5, v66, v105
	v_add_f16_e32 v1, v69, v113
	v_sub_f16_e32 v10, v69, v113
	;; [unrolled: 2-line block ×3, first 2 shown]
	v_add_f16_e32 v69, v9, v15
	v_add_f16_e32 v71, v112, v81
	v_sub_f16_e32 v9, v9, v15
	v_add_f16_e32 v15, v68, v89
	v_add_f16_e32 v87, v140, v93
	v_sub_f16_e32 v68, v68, v89
	v_sub_f16_e32 v81, v112, v81
	;; [unrolled: 1-line block ×3, first 2 shown]
	v_add_f16_e32 v89, v98, v94
	v_add_f16_e32 v93, v111, v96
	;; [unrolled: 1-line block ×3, first 2 shown]
	v_sub_f16_e32 v92, v98, v94
	v_sub_f16_e32 v94, v111, v96
	;; [unrolled: 1-line block ×3, first 2 shown]
	v_add_f16_e32 v97, v67, v101
	v_sub_f16_e32 v67, v67, v101
	v_add_f16_e32 v98, v70, v116
	v_sub_f16_e32 v70, v70, v116
	;; [unrolled: 2-line block ×7, first 2 shown]
	v_pack_b32_f16 v69, v69, v71
	v_pack_b32_f16 v15, v15, v87
	v_pack_b32_f16 v9, v9, v81
	v_pack_b32_f16 v68, v68, v88
	v_pack_b32_f16 v71, v89, v93
	v_pack_b32_f16 v1, v1, v95
	v_pack_b32_f16 v81, v92, v94
	v_pack_b32_f16 v10, v10, v96
	v_pack_b32_f16 v87, v97, v101
	v_pack_b32_f16 v88, v98, v105
	v_pack_b32_f16 v6, v67, v6
	v_pack_b32_f16 v67, v70, v107
	v_pack_b32_f16 v70, v108, v109
	v_pack_b32_f16 v13, v13, v110
	v_pack_b32_f16 v7, v7, v103
	v_pack_b32_f16 v66, v66, v111
	ds_write2_b32 v84, v3, v69 offset1:10
	ds_write2_b32 v84, v15, v4 offset0:20 offset1:30
	ds_write2_b32 v84, v9, v68 offset0:40 offset1:50
	ds_write2_b32 v85, v18, v71 offset1:10
	ds_write2_b32 v85, v1, v14 offset0:20 offset1:30
	ds_write2_b32 v85, v81, v10 offset0:40 offset1:50
	;; [unrolled: 3-line block ×4, first 2 shown]
	v_mul_f16_e32 v3, 0x3aee, v100
	v_sub_f16_e32 v4, v90, v17
	v_mul_f16_e32 v8, 0xbaee, v102
	v_mul_u32_u24_e32 v9, 0xf0, v78
	v_lshlrev_b32_sdwa v10, v74, v79 dst_sel:DWORD dst_unused:UNUSED_PAD src0_sel:DWORD src1_sel:WORD_0
	v_fmac_f16_e32 v3, 0.5, v102
	v_fmamk_f16 v13, v4, 0xbaee, v138
	v_fmac_f16_e32 v8, 0.5, v100
	v_add_f16_e32 v7, v99, v104
	v_add3_u32 v9, 0, v9, v10
	v_add_f16_e32 v10, v91, v3
	v_mov_b32_e32 v20, 0x8889
	v_add_f16_e32 v16, v13, v8
	v_mul_f16_e32 v15, -0.5, v121
	v_add_f16_e32 v1, v80, v17
	v_add_f16_e32 v6, v86, v19
	;; [unrolled: 1-line block ×3, first 2 shown]
	v_fmac_f16_e32 v138, 0x3aee, v4
	v_pack_b32_f16 v4, v10, v16
	v_sub_f16_e32 v10, v106, v7
	v_mul_u32_u24_sdwa v7, v54, v20 dst_sel:DWORD dst_unused:UNUSED_PAD src0_sel:WORD_0 src1_sel:DWORD
	v_fmac_f16_e32 v15, 0xbaee, v11
	v_add_f16_e32 v12, v1, v6
	v_sub_f16_e32 v6, v1, v6
	v_sub_f16_e32 v3, v91, v3
	v_lshrrev_b32_e32 v1, 21, v7
	v_add_f16_e32 v11, v138, v15
	v_sub_f16_e32 v8, v13, v8
	v_sub_f16_e32 v13, v138, v15
	v_pack_b32_f16 v12, v12, v14
	v_pack_b32_f16 v6, v6, v10
	v_mul_lo_u16 v10, v1, 60
	v_pack_b32_f16 v2, v2, v11
	v_pack_b32_f16 v3, v3, v8
	;; [unrolled: 1-line block ×3, first 2 shown]
	ds_write2_b32 v9, v12, v4 offset1:10
	ds_write2_b32 v9, v2, v6 offset0:20 offset1:30
	ds_write2_b32 v9, v3, v5 offset0:40 offset1:50
	v_sub_nc_u16 v3, v54, v10
	v_mul_u32_u24_sdwa v10, v49, v20 dst_sel:DWORD dst_unused:UNUSED_PAD src0_sel:WORD_0 src1_sel:DWORD
	v_mul_u32_u24_sdwa v8, v53, v20 dst_sel:DWORD dst_unused:UNUSED_PAD src0_sel:WORD_0 src1_sel:DWORD
	;; [unrolled: 1-line block ×4, first 2 shown]
	v_lshlrev_b32_sdwa v6, v74, v3 dst_sel:DWORD dst_unused:UNUSED_PAD src0_sel:DWORD src1_sel:WORD_0
	v_lshrrev_b32_e32 v84, 21, v10
	v_lshrrev_b32_e32 v2, 21, v8
	;; [unrolled: 1-line block ×4, first 2 shown]
	v_mul_u32_u24_sdwa v15, v62, v20 dst_sel:DWORD dst_unused:UNUSED_PAD src0_sel:WORD_0 src1_sel:DWORD
	v_mul_lo_u16 v13, v84, 60
	v_mul_lo_u16 v3, v2, 60
	;; [unrolled: 1-line block ×4, first 2 shown]
	v_mul_u32_u24_sdwa v16, v61, v20 dst_sel:DWORD dst_unused:UNUSED_PAD src0_sel:WORD_0 src1_sel:DWORD
	v_sub_nc_u16 v13, v49, v13
	v_sub_nc_u16 v3, v53, v3
	;; [unrolled: 1-line block ×3, first 2 shown]
	v_lshrrev_b32_e32 v90, 21, v15
	v_mul_u32_u24_sdwa v11, v55, v20 dst_sel:DWORD dst_unused:UNUSED_PAD src0_sel:WORD_0 src1_sel:DWORD
	v_lshlrev_b32_sdwa v97, v74, v13 dst_sel:DWORD dst_unused:UNUSED_PAD src0_sel:DWORD src1_sel:WORD_0
	v_mul_u32_u24_sdwa v13, v52, v20 dst_sel:DWORD dst_unused:UNUSED_PAD src0_sel:WORD_0 src1_sel:DWORD
	v_lshlrev_b32_sdwa v94, v74, v3 dst_sel:DWORD dst_unused:UNUSED_PAD src0_sel:DWORD src1_sel:WORD_0
	v_sub_nc_u16 v3, v48, v14
	v_mul_u32_u24_e32 v14, 0x445, v58
	v_lshlrev_b32_sdwa v96, v74, v4 dst_sel:DWORD dst_unused:UNUSED_PAD src0_sel:DWORD src1_sel:WORD_0
	v_lshrrev_b32_e32 v86, 21, v13
	v_lshrrev_b32_e32 v92, 21, v16
	v_lshlrev_b32_sdwa v108, v74, v3 dst_sel:DWORD dst_unused:UNUSED_PAD src0_sel:DWORD src1_sel:WORD_0
	v_mul_u32_u24_sdwa v3, v57, v20 dst_sel:DWORD dst_unused:UNUSED_PAD src0_sel:WORD_0 src1_sel:DWORD
	v_lshrrev_b32_e32 v87, 16, v14
	v_mul_lo_u16 v4, v86, 60
	v_mul_lo_u16 v68, v90, 60
	v_lshrrev_b32_e32 v82, 21, v11
	v_lshrrev_b32_e32 v88, 21, v3
	v_mul_lo_u16 v66, v87, 60
	v_sub_nc_u16 v4, v52, v4
	v_mul_u32_u24_sdwa v80, v75, v20 dst_sel:DWORD dst_unused:UNUSED_PAD src0_sel:WORD_0 src1_sel:DWORD
	v_mul_lo_u16 v5, v82, 60
	v_mul_lo_u16 v67, v88, 60
	v_sub_nc_u16 v66, v58, v66
	v_lshlrev_b32_sdwa v109, v74, v4 dst_sel:DWORD dst_unused:UNUSED_PAD src0_sel:DWORD src1_sel:WORD_0
	v_mul_u32_u24_sdwa v4, v56, v20 dst_sel:DWORD dst_unused:UNUSED_PAD src0_sel:WORD_0 src1_sel:DWORD
	v_mul_lo_u16 v89, 0x89, v77
	v_sub_nc_u16 v20, v57, v67
	v_lshlrev_b32_sdwa v110, v74, v66 dst_sel:DWORD dst_unused:UNUSED_PAD src0_sel:DWORD src1_sel:WORD_0
	v_mul_lo_u16 v66, v92, 60
	v_lshrrev_b32_e32 v118, 21, v4
	v_sub_nc_u16 v67, v62, v68
	v_lshlrev_b32_sdwa v111, v74, v20 dst_sel:DWORD dst_unused:UNUSED_PAD src0_sel:DWORD src1_sel:WORD_0
	v_lshrrev_b32_e32 v119, 21, v80
	v_sub_nc_u16 v66, v61, v66
	v_mul_lo_u16 v20, v118, 60
	v_lshlrev_b32_sdwa v112, v74, v67 dst_sel:DWORD dst_unused:UNUSED_PAD src0_sel:DWORD src1_sel:WORD_0
	v_mul_lo_u16 v67, 0x89, v76
	v_sub_nc_u16 v5, v55, v5
	v_lshrrev_b16 v91, 13, v89
	v_sub_nc_u16 v20, v56, v20
	v_lshlrev_b32_sdwa v113, v74, v66 dst_sel:DWORD dst_unused:UNUSED_PAD src0_sel:DWORD src1_sel:WORD_0
	v_mul_lo_u16 v66, v119, 60
	v_lshrrev_b16 v120, 13, v67
	v_lshlrev_b32_sdwa v95, v74, v5 dst_sel:DWORD dst_unused:UNUSED_PAD src0_sel:DWORD src1_sel:WORD_0
	v_lshlrev_b32_sdwa v115, v74, v20 dst_sel:DWORD dst_unused:UNUSED_PAD src0_sel:DWORD src1_sel:WORD_0
	v_mul_lo_u16 v20, v91, 60
	v_sub_nc_u16 v66, v75, v66
	v_mul_lo_u16 v67, v120, 60
	s_waitcnt lgkmcnt(0)
	s_barrier
	buffer_gl0_inv
	s_clause 0x6
	global_load_dword v5, v95, s[12:13] offset:200
	global_load_dword v93, v6, s[12:13] offset:200
	;; [unrolled: 1-line block ×7, first 2 shown]
	v_sub_nc_u16 v20, v73, v20
	v_lshlrev_b32_sdwa v116, v74, v66 dst_sel:DWORD dst_unused:UNUSED_PAD src0_sel:DWORD src1_sel:WORD_0
	v_sub_nc_u16 v66, v25, v67
	s_clause 0x3
	global_load_dword v106, v110, s[12:13] offset:200
	global_load_dword v103, v111, s[12:13] offset:200
	;; [unrolled: 1-line block ×4, first 2 shown]
	v_lshlrev_b32_sdwa v114, v74, v20 dst_sel:DWORD dst_unused:UNUSED_PAD src0_sel:DWORD src1_sel:BYTE_0
	s_clause 0x1
	global_load_dword v101, v115, s[12:13] offset:200
	global_load_dword v99, v116, s[12:13] offset:200
	v_lshlrev_b32_sdwa v117, v74, v66 dst_sel:DWORD dst_unused:UNUSED_PAD src0_sel:DWORD src1_sel:BYTE_0
	s_clause 0x1
	global_load_dword v100, v114, s[12:13] offset:200
	global_load_dword v98, v117, s[12:13] offset:200
	v_add_nc_u32_e32 v20, 0xffffff88, v25
	v_lshrrev_b32_e32 v66, 22, v8
	v_lshrrev_b32_e32 v67, 22, v9
	;; [unrolled: 1-line block ×3, first 2 shown]
	v_mul_u32_u24_e32 v132, 0x1e0, v2
	v_cndmask_b32_e64 v121, v20, v25, s0
	v_lshrrev_b32_e32 v20, 22, v7
	v_mul_u32_u24_e32 v133, 0x1e0, v1
	v_mul_lo_u16 v2, 0x78, v66
	v_mov_b32_e32 v123, 0x1e0
	v_mul_u32_u24_e32 v130, 0x1e0, v84
	v_mul_lo_u16 v1, 0x78, v20
	v_mul_u32_u24_e32 v134, 0x1e0, v82
	v_mul_lo_u16 v82, 0x78, v67
	v_mul_lo_u16 v84, 0x78, v68
	v_sub_nc_u16 v2, v53, v2
	v_sub_nc_u16 v1, v54, v1
	v_mul_u32_u24_sdwa v120, v120, v123 dst_sel:DWORD dst_unused:UNUSED_PAD src0_sel:WORD_0 src1_sel:DWORD
	v_mul_u32_u24_e32 v128, 0x1e0, v86
	v_mul_u32_u24_e32 v129, 0x1e0, v85
	v_mul_u32_u24_sdwa v123, v91, v123 dst_sel:DWORD dst_unused:UNUSED_PAD src0_sel:WORD_0 src1_sel:DWORD
	v_sub_nc_u16 v91, v50, v82
	v_sub_nc_u16 v137, v49, v84
	v_lshlrev_b32_sdwa v82, v74, v1 dst_sel:DWORD dst_unused:UNUSED_PAD src0_sel:DWORD src1_sel:WORD_0
	v_lshlrev_b32_sdwa v84, v74, v2 dst_sel:DWORD dst_unused:UNUSED_PAD src0_sel:DWORD src1_sel:WORD_0
	ds_read2st64_b32 v[1:2], v72 offset0:54 offset1:56
	v_lshrrev_b32_e32 v69, 22, v12
	v_lshrrev_b32_e32 v70, 22, v13
	;; [unrolled: 1-line block ×6, first 2 shown]
	v_add3_u32 v128, 0, v128, v109
	v_add3_u32 v129, 0, v129, v108
	ds_read2st64_b32 v[108:109], v72 offset0:50 offset1:52
	v_add3_u32 v132, 0, v132, v94
	v_add3_u32 v134, 0, v134, v95
	ds_read2st64_b32 v[94:95], v72 offset0:46 offset1:48
	v_lshrrev_b32_e32 v78, 22, v16
	v_mul_u32_u24_e32 v125, 0x1e0, v90
	v_mul_u32_u24_e32 v126, 0x1e0, v88
	;; [unrolled: 1-line block ×4, first 2 shown]
	v_mul_lo_u16 v85, 0x78, v69
	v_mul_lo_u16 v86, 0x78, v70
	v_mul_lo_u16 v87, 0x78, v71
	v_mul_lo_u16 v88, 0x78, v76
	v_mul_lo_u16 v90, 0x78, v77
	v_lshrrev_b16 v83, 14, v89
	v_mul_lo_u16 v89, 0x78, v81
	v_mul_u32_u24_e32 v119, 0x1e0, v119
	v_mul_u32_u24_e32 v118, 0x1e0, v118
	;; [unrolled: 1-line block ×3, first 2 shown]
	v_mul_lo_u16 v92, 0x78, v78
	v_sub_nc_u16 v138, v48, v85
	v_sub_nc_u16 v139, v52, v86
	;; [unrolled: 1-line block ×7, first 2 shown]
	v_lshlrev_b32_sdwa v85, v74, v91 dst_sel:DWORD dst_unused:UNUSED_PAD src0_sel:DWORD src1_sel:WORD_0
	v_lshlrev_b32_sdwa v86, v74, v137 dst_sel:DWORD dst_unused:UNUSED_PAD src0_sel:DWORD src1_sel:WORD_0
	;; [unrolled: 1-line block ×8, first 2 shown]
	v_add3_u32 v120, 0, v120, v117
	v_add3_u32 v137, 0, v119, v116
	;; [unrolled: 1-line block ×11, first 2 shown]
	ds_read2st64_b32 v[96:97], v72 offset0:42 offset1:44
	ds_read2st64_b32 v[110:111], v72 offset0:38 offset1:40
	;; [unrolled: 1-line block ×4, first 2 shown]
	ds_read2st64_b32 v[116:117], v72 offset1:2
	ds_read_b32 v144, v51
	ds_read_b32 v6, v72 offset:14848
	ds_read2st64_b32 v[118:119], v72 offset0:4 offset1:6
	ds_read2st64_b32 v[123:124], v72 offset0:8 offset1:10
	;; [unrolled: 1-line block ×3, first 2 shown]
	v_lshrrev_b32_e32 v79, 22, v4
	v_lshrrev_b32_e32 v80, 22, v80
	v_mov_b32_e32 v122, v26
	v_mul_u32_u24_e32 v78, 0x3c0, v78
	v_mul_u32_u24_e32 v77, 0x3c0, v77
	v_mul_lo_u16 v135, 0x78, v79
	v_mul_lo_u16 v136, 0x78, v80
	v_mul_u32_u24_e32 v80, 0x3c0, v80
	v_mul_u32_u24_e32 v79, 0x3c0, v79
	;; [unrolled: 1-line block ×11, first 2 shown]
	v_add3_u32 v20, 0, v20, v82
	s_waitcnt vmcnt(13) lgkmcnt(12)
	v_pk_mul_f16 v145, v2, v93 op_sel:[0,1]
	s_waitcnt vmcnt(12)
	v_pk_mul_f16 v146, v1, v19 op_sel:[0,1]
	s_waitcnt vmcnt(11) lgkmcnt(11)
	v_pk_mul_f16 v147, v109, v18 op_sel:[0,1]
	s_waitcnt vmcnt(10)
	v_pk_mul_f16 v148, v108, v17 op_sel:[0,1]
	v_pk_fma_f16 v149, v2, v93, v145 op_sel:[0,0,1] op_sel_hi:[1,1,0] neg_lo:[0,0,1] neg_hi:[0,0,1]
	v_pk_fma_f16 v93, v2, v93, v145 op_sel:[0,0,1] op_sel_hi:[1,0,0]
	v_pk_fma_f16 v145, v1, v19, v146 op_sel:[0,0,1] op_sel_hi:[1,1,0] neg_lo:[0,0,1] neg_hi:[0,0,1]
	v_pk_fma_f16 v19, v1, v19, v146 op_sel:[0,0,1] op_sel_hi:[1,0,0]
	s_waitcnt vmcnt(9) lgkmcnt(10)
	v_pk_mul_f16 v1, v95, v107 op_sel:[0,1]
	s_waitcnt vmcnt(8)
	v_pk_mul_f16 v2, v94, v104 op_sel:[0,1]
	v_pk_fma_f16 v146, v109, v18, v147 op_sel:[0,0,1] op_sel_hi:[1,1,0] neg_lo:[0,0,1] neg_hi:[0,0,1]
	v_pk_fma_f16 v109, v109, v18, v147 op_sel:[0,0,1] op_sel_hi:[1,0,0]
	v_pk_fma_f16 v147, v108, v17, v148 op_sel:[0,0,1] op_sel_hi:[1,1,0] neg_lo:[0,0,1] neg_hi:[0,0,1]
	v_pk_fma_f16 v108, v108, v17, v148 op_sel:[0,0,1] op_sel_hi:[1,0,0]
	s_waitcnt vmcnt(7) lgkmcnt(9)
	v_pk_mul_f16 v17, v97, v106 op_sel:[0,1]
	s_waitcnt vmcnt(6)
	v_pk_mul_f16 v18, v96, v103 op_sel:[0,1]
	v_pk_fma_f16 v148, v95, v107, v1 op_sel:[0,0,1] op_sel_hi:[1,1,0] neg_lo:[0,0,1] neg_hi:[0,0,1]
	v_pk_fma_f16 v95, v95, v107, v1 op_sel:[0,0,1] op_sel_hi:[1,0,0]
	v_pk_fma_f16 v107, v94, v104, v2 op_sel:[0,0,1] op_sel_hi:[1,1,0] neg_lo:[0,0,1] neg_hi:[0,0,1]
	v_pk_fma_f16 v94, v94, v104, v2 op_sel:[0,0,1] op_sel_hi:[1,0,0]
	s_waitcnt vmcnt(5) lgkmcnt(8)
	v_pk_mul_f16 v1, v111, v105 op_sel:[0,1]
	s_waitcnt vmcnt(4)
	v_pk_mul_f16 v2, v110, v102 op_sel:[0,1]
	v_pk_fma_f16 v104, v97, v106, v17 op_sel:[0,0,1] op_sel_hi:[1,1,0] neg_lo:[0,0,1] neg_hi:[0,0,1]
	v_pk_fma_f16 v97, v97, v106, v17 op_sel:[0,0,1] op_sel_hi:[1,0,0]
	v_pk_fma_f16 v106, v96, v103, v18 op_sel:[0,0,1] op_sel_hi:[1,1,0] neg_lo:[0,0,1] neg_hi:[0,0,1]
	v_pk_fma_f16 v96, v96, v103, v18 op_sel:[0,0,1] op_sel_hi:[1,0,0]
	s_waitcnt vmcnt(3) lgkmcnt(7)
	v_pk_mul_f16 v17, v113, v101 op_sel:[0,1]
	s_waitcnt vmcnt(2)
	v_pk_mul_f16 v18, v112, v99 op_sel:[0,1]
	v_pk_fma_f16 v103, v111, v105, v1 op_sel:[0,0,1] op_sel_hi:[1,1,0] neg_lo:[0,0,1] neg_hi:[0,0,1]
	v_pk_fma_f16 v105, v111, v105, v1 op_sel:[0,0,1] op_sel_hi:[1,0,0]
	v_pk_fma_f16 v111, v110, v102, v2 op_sel:[0,0,1] op_sel_hi:[1,1,0] neg_lo:[0,0,1] neg_hi:[0,0,1]
	v_pk_fma_f16 v102, v110, v102, v2 op_sel:[0,0,1] op_sel_hi:[1,0,0]
	s_waitcnt vmcnt(0) lgkmcnt(6)
	v_pk_mul_f16 v2, v98, v114 op_sel:[0,1]
	v_pk_mul_f16 v1, v100, v115 op_sel:[0,1]
	v_pk_fma_f16 v110, v113, v101, v17 op_sel:[0,0,1] op_sel_hi:[1,1,0] neg_lo:[0,0,1] neg_hi:[0,0,1]
	v_pk_fma_f16 v101, v113, v101, v17 op_sel:[0,0,1] op_sel_hi:[1,0,0]
	v_pk_fma_f16 v113, v112, v99, v18 op_sel:[0,0,1] op_sel_hi:[1,1,0] neg_lo:[0,0,1] neg_hi:[0,0,1]
	v_pk_fma_f16 v99, v112, v99, v18 op_sel:[0,0,1] op_sel_hi:[1,0,0]
	s_waitcnt lgkmcnt(3)
	v_pk_mul_f16 v17, v6, v5 op_sel:[0,1]
	v_pk_fma_f16 v18, v98, v114, v2 op_sel:[0,0,1] op_sel_hi:[1,1,0] neg_lo:[0,0,1] neg_hi:[0,0,1]
	v_pk_fma_f16 v98, v98, v114, v2 op_sel:[0,0,1] op_sel_hi:[1,0,0]
	v_pk_fma_f16 v112, v100, v115, v1 op_sel:[0,0,1] op_sel_hi:[1,1,0] neg_lo:[0,0,1] neg_hi:[0,0,1]
	v_pk_fma_f16 v100, v100, v115, v1 op_sel:[0,0,1] op_sel_hi:[1,0,0]
	;; [unrolled: 2-line block ×3, first 2 shown]
	ds_read2st64_b32 v[5:6], v72 offset0:22 offset1:24
	v_bfi_b32 v98, 0xffff, v18, v98
	ds_read2st64_b32 v[17:18], v72 offset0:26 offset1:28
	ds_read2st64_b32 v[1:2], v72 offset0:18 offset1:20
	v_bfi_b32 v100, 0xffff, v112, v100
	v_bfi_b32 v99, 0xffff, v113, v99
	v_bfi_b32 v101, 0xffff, v110, v101
	v_bfi_b32 v102, 0xffff, v111, v102
	v_bfi_b32 v103, 0xffff, v103, v105
	v_bfi_b32 v105, 0xffff, v146, v109
	v_bfi_b32 v93, 0xffff, v149, v93
	v_bfi_b32 v96, 0xffff, v106, v96
	v_bfi_b32 v97, 0xffff, v104, v97
	v_bfi_b32 v94, 0xffff, v107, v94
	v_bfi_b32 v95, 0xffff, v148, v95
	v_bfi_b32 v104, 0xffff, v147, v108
	v_bfi_b32 v19, 0xffff, v145, v19
	v_bfi_b32 v106, 0xffff, v114, v115
	v_pk_add_f16 v98, v116, v98 neg_lo:[0,1] neg_hi:[0,1]
	v_pk_add_f16 v100, v117, v100 neg_lo:[0,1] neg_hi:[0,1]
	s_waitcnt lgkmcnt(5)
	v_pk_add_f16 v99, v118, v99 neg_lo:[0,1] neg_hi:[0,1]
	v_pk_add_f16 v101, v119, v101 neg_lo:[0,1] neg_hi:[0,1]
	s_waitcnt lgkmcnt(4)
	v_pk_add_f16 v102, v123, v102 neg_lo:[0,1] neg_hi:[0,1]
	s_waitcnt lgkmcnt(2)
	;; [unrolled: 2-line block ×3, first 2 shown]
	v_pk_add_f16 v93, v17, v93 neg_lo:[0,1] neg_hi:[0,1]
	v_pk_add_f16 v103, v124, v103 neg_lo:[0,1] neg_hi:[0,1]
	;; [unrolled: 1-line block ×5, first 2 shown]
	s_waitcnt lgkmcnt(0)
	v_pk_add_f16 v95, v1, v95 neg_lo:[0,1] neg_hi:[0,1]
	v_pk_add_f16 v104, v2, v104 neg_lo:[0,1] neg_hi:[0,1]
	;; [unrolled: 1-line block ×4, first 2 shown]
	v_pk_fma_f16 v107, v116, 2.0, v98 op_sel_hi:[1,0,1] neg_lo:[0,0,1] neg_hi:[0,0,1]
	v_pk_fma_f16 v108, v117, 2.0, v100 op_sel_hi:[1,0,1] neg_lo:[0,0,1] neg_hi:[0,0,1]
	;; [unrolled: 1-line block ×7, first 2 shown]
	s_barrier
	buffer_gl0_inv
	v_pk_fma_f16 v112, v124, 2.0, v103 op_sel_hi:[1,0,1] neg_lo:[0,0,1] neg_hi:[0,0,1]
	v_pk_fma_f16 v113, v125, 2.0, v96 op_sel_hi:[1,0,1] neg_lo:[0,0,1] neg_hi:[0,0,1]
	;; [unrolled: 1-line block ×8, first 2 shown]
	ds_write2_b32 v120, v107, v98 offset1:60
	ds_write2_b32 v143, v108, v100 offset1:60
	;; [unrolled: 1-line block ×15, first 2 shown]
	v_sub_nc_u16 v5, v56, v135
	v_mul_lo_u16 v17, 0x78, v83
	v_lshlrev_b64 v[1:2], 2, v[121:122]
	v_sub_nc_u16 v6, v75, v136
	s_waitcnt lgkmcnt(0)
	v_lshlrev_b32_sdwa v109, v74, v5 dst_sel:DWORD dst_unused:UNUSED_PAD src0_sel:DWORD src1_sel:WORD_0
	v_sub_nc_u16 v5, v73, v17
	s_barrier
	v_add_co_u32 v1, s0, s12, v1
	buffer_gl0_inv
	s_clause 0x4
	global_load_dword v93, v88, s[12:13] offset:440
	global_load_dword v98, v82, s[12:13] offset:440
	global_load_dword v97, v84, s[12:13] offset:440
	global_load_dword v95, v85, s[12:13] offset:440
	global_load_dword v94, v86, s[12:13] offset:440
	v_lshlrev_b32_sdwa v108, v74, v142 dst_sel:DWORD dst_unused:UNUSED_PAD src0_sel:DWORD src1_sel:WORD_0
	v_lshlrev_b32_sdwa v110, v74, v6 dst_sel:DWORD dst_unused:UNUSED_PAD src0_sel:DWORD src1_sel:WORD_0
	v_add_co_ci_u32_e64 v2, s0, s13, v2, s0
	v_lshlrev_b32_sdwa v107, v74, v5 dst_sel:DWORD dst_unused:UNUSED_PAD src0_sel:DWORD src1_sel:BYTE_0
	s_clause 0x9
	global_load_dword v106, v87, s[12:13] offset:440
	global_load_dword v105, v89, s[12:13] offset:440
	;; [unrolled: 1-line block ×9, first 2 shown]
	global_load_dword v99, v[1:2], off offset:440
	v_cmp_lt_u32_e64 s0, 0x77, v25
	v_add_nc_u32_e32 v1, 0xffffff90, v25
	v_mov_b32_e32 v6, v26
	v_lshlrev_b32_e32 v113, 2, v121
	v_lshrrev_b32_e32 v114, 23, v16
	v_cndmask_b32_e64 v111, 0, 0x3c0, s0
	v_cmp_gt_u32_e64 s0, 0xf0, v73
	v_mov_b32_e32 v112, 0x3c0
	v_lshrrev_b32_e32 v115, 23, v3
	v_mul_lo_u16 v114, 0xf0, v114
	v_add3_u32 v111, 0, v111, v113
	v_cndmask_b32_e64 v5, v1, v73, s0
	v_add_co_u32 v1, s0, s12, v64
	v_add_co_ci_u32_e64 v2, s0, s13, v65, s0
	v_lshlrev_b64 v[64:65], 2, v[5:6]
	v_lshrrev_b32_e32 v6, 23, v15
	v_lshrrev_b32_e32 v15, 23, v4
	v_add_co_u32 v3, s0, s12, v59
	v_add_co_ci_u32_e64 v4, s0, s13, v60, s0
	v_mul_lo_u16 v113, 0xf0, v15
	v_mul_lo_u16 v120, 0xf0, v6
	v_add_co_u32 v59, s0, s12, v64
	v_mul_u32_u24_sdwa v64, v83, v112 dst_sel:DWORD dst_unused:UNUSED_PAD src0_sel:WORD_0 src1_sel:DWORD
	v_sub_nc_u16 v112, v56, v113
	v_sub_nc_u16 v113, v61, v114
	;; [unrolled: 1-line block ×3, first 2 shown]
	ds_read2st64_b32 v[61:62], v72 offset0:54 offset1:56
	v_add_co_ci_u32_e64 v60, s0, s13, v65, s0
	v_add3_u32 v110, 0, v80, v110
	v_add3_u32 v109, 0, v79, v109
	;; [unrolled: 1-line block ×13, first 2 shown]
	ds_read2st64_b32 v[64:65], v72 offset0:50 offset1:52
	ds_read2st64_b32 v[66:67], v72 offset0:46 offset1:48
	ds_read2st64_b32 v[68:69], v72 offset0:42 offset1:44
	ds_read2st64_b32 v[70:71], v72 offset0:38 offset1:40
	ds_read2st64_b32 v[76:77], v72 offset0:34 offset1:36
	ds_read2st64_b32 v[78:79], v72 offset0:30 offset1:32
	ds_read2st64_b32 v[80:81], v72 offset1:2
	ds_read_b32 v133, v51
	ds_read_b32 v134, v72 offset:14848
	ds_read2st64_b32 v[82:83], v72 offset0:4 offset1:6
	ds_read2st64_b32 v[84:85], v72 offset0:8 offset1:10
	;; [unrolled: 1-line block ×6, first 2 shown]
	v_lshrrev_b32_e32 v117, 23, v10
	v_lshrrev_b32_e32 v16, 18, v14
	;; [unrolled: 1-line block ×4, first 2 shown]
	v_mul_lo_u16 v115, 0xf0, v115
	v_mul_lo_u16 v117, 0xf0, v117
	v_lshrrev_b32_e32 v18, 23, v9
	v_lshrrev_b32_e32 v118, 23, v8
	;; [unrolled: 1-line block ×3, first 2 shown]
	v_mul_lo_u16 v121, 0xf0, v16
	v_mul_lo_u16 v116, 0xf0, v116
	;; [unrolled: 1-line block ×3, first 2 shown]
	s_waitcnt vmcnt(0) lgkmcnt(0)
	s_barrier
	buffer_gl0_inv
	v_lshrrev_b32_e32 v119, 23, v11
	v_mul_lo_u16 v123, 0xf0, v18
	v_cmp_lt_u32_e64 s0, 0xef, v73
	v_lshlrev_b32_e32 v5, 2, v5
	v_lshrrev_b32_e32 v14, 19, v14
	v_lshrrev_b32_e32 v10, 24, v10
	;; [unrolled: 1-line block ×3, first 2 shown]
	v_cndmask_b32_e64 v73, 0, 0x780, s0
	v_mul_u32_u24_e32 v16, 0x780, v16
	v_mul_u32_u24_e32 v18, 0x780, v18
	v_add_nc_u32_e32 v25, 0xffffffa0, v25
	v_mul_lo_u16 v13, 0x1e0, v13
	v_add3_u32 v73, 0, v73, v5
	v_mul_lo_u16 v5, 0x1e0, v14
	v_cmp_gt_u32_e64 s0, 0x1e0, v56
	v_lshrrev_b32_e32 v8, 24, v8
	v_sub_nc_u16 v13, v52, v13
	v_lshrrev_b32_e32 v7, 24, v7
	v_cndmask_b32_e64 v25, v25, v56, s0
	v_pk_mul_f16 v149, v134, v93 op_sel:[0,1]
	v_pk_mul_f16 v135, v62, v98 op_sel:[0,1]
	;; [unrolled: 1-line block ×15, first 2 shown]
	v_pk_fma_f16 v150, v62, v98, v135 op_sel:[0,0,1] op_sel_hi:[1,1,0] neg_lo:[0,0,1] neg_hi:[0,0,1]
	v_pk_fma_f16 v62, v62, v98, v135 op_sel:[0,0,1] op_sel_hi:[1,0,0]
	v_pk_fma_f16 v98, v61, v97, v136 op_sel:[0,0,1] op_sel_hi:[1,1,0] neg_lo:[0,0,1] neg_hi:[0,0,1]
	v_pk_fma_f16 v61, v61, v97, v136 op_sel:[0,0,1] op_sel_hi:[1,0,0]
	;; [unrolled: 2-line block ×15, first 2 shown]
	v_bfi_b32 v78, 0xffff, v136, v78
	v_bfi_b32 v79, 0xffff, v135, v79
	;; [unrolled: 1-line block ×15, first 2 shown]
	v_pk_add_f16 v78, v80, v78 neg_lo:[0,1] neg_hi:[0,1]
	v_pk_add_f16 v79, v81, v79 neg_lo:[0,1] neg_hi:[0,1]
	v_pk_add_f16 v75, v82, v75 neg_lo:[0,1] neg_hi:[0,1]
	v_pk_add_f16 v77, v83, v77 neg_lo:[0,1] neg_hi:[0,1]
	v_pk_add_f16 v70, v84, v70 neg_lo:[0,1] neg_hi:[0,1]
	v_pk_add_f16 v71, v85, v71 neg_lo:[0,1] neg_hi:[0,1]
	v_pk_add_f16 v68, v86, v68 neg_lo:[0,1] neg_hi:[0,1]
	v_pk_add_f16 v69, v133, v69 neg_lo:[0,1] neg_hi:[0,1]
	v_pk_add_f16 v66, v87, v66 neg_lo:[0,1] neg_hi:[0,1]
	v_pk_add_f16 v67, v88, v67 neg_lo:[0,1] neg_hi:[0,1]
	v_pk_add_f16 v64, v89, v64 neg_lo:[0,1] neg_hi:[0,1]
	v_pk_add_f16 v65, v90, v65 neg_lo:[0,1] neg_hi:[0,1]
	v_pk_add_f16 v61, v91, v61 neg_lo:[0,1] neg_hi:[0,1]
	v_pk_add_f16 v62, v107, v62 neg_lo:[0,1] neg_hi:[0,1]
	v_pk_add_f16 v76, v108, v76 neg_lo:[0,1] neg_hi:[0,1]
	v_pk_fma_f16 v80, v80, 2.0, v78 op_sel_hi:[1,0,1] neg_lo:[0,0,1] neg_hi:[0,0,1]
	v_pk_fma_f16 v81, v81, 2.0, v79 op_sel_hi:[1,0,1] neg_lo:[0,0,1] neg_hi:[0,0,1]
	v_pk_fma_f16 v82, v82, 2.0, v75 op_sel_hi:[1,0,1] neg_lo:[0,0,1] neg_hi:[0,0,1]
	v_pk_fma_f16 v83, v83, 2.0, v77 op_sel_hi:[1,0,1] neg_lo:[0,0,1] neg_hi:[0,0,1]
	v_pk_fma_f16 v84, v84, 2.0, v70 op_sel_hi:[1,0,1] neg_lo:[0,0,1] neg_hi:[0,0,1]
	v_pk_fma_f16 v85, v85, 2.0, v71 op_sel_hi:[1,0,1] neg_lo:[0,0,1] neg_hi:[0,0,1]
	v_pk_fma_f16 v86, v86, 2.0, v68 op_sel_hi:[1,0,1] neg_lo:[0,0,1] neg_hi:[0,0,1]
	v_pk_fma_f16 v93, v133, 2.0, v69 op_sel_hi:[1,0,1] neg_lo:[0,0,1] neg_hi:[0,0,1]
	v_pk_fma_f16 v87, v87, 2.0, v66 op_sel_hi:[1,0,1] neg_lo:[0,0,1] neg_hi:[0,0,1]
	v_pk_fma_f16 v88, v88, 2.0, v67 op_sel_hi:[1,0,1] neg_lo:[0,0,1] neg_hi:[0,0,1]
	v_pk_fma_f16 v89, v89, 2.0, v64 op_sel_hi:[1,0,1] neg_lo:[0,0,1] neg_hi:[0,0,1]
	v_pk_fma_f16 v90, v90, 2.0, v65 op_sel_hi:[1,0,1] neg_lo:[0,0,1] neg_hi:[0,0,1]
	v_pk_fma_f16 v91, v91, 2.0, v61 op_sel_hi:[1,0,1] neg_lo:[0,0,1] neg_hi:[0,0,1]
	v_pk_fma_f16 v94, v107, 2.0, v62 op_sel_hi:[1,0,1] neg_lo:[0,0,1] neg_hi:[0,0,1]
	v_pk_fma_f16 v95, v108, 2.0, v76 op_sel_hi:[1,0,1] neg_lo:[0,0,1] neg_hi:[0,0,1]
	ds_write2_b32 v111, v80, v78 offset1:120
	ds_write2_b32 v132, v81, v79 offset1:120
	;; [unrolled: 1-line block ×15, first 2 shown]
	v_sub_nc_u16 v20, v57, v115
	v_sub_nc_u16 v67, v49, v117
	s_waitcnt lgkmcnt(0)
	s_barrier
	buffer_gl0_inv
	s_clause 0x2
	global_load_dword v75, v[1:2], off offset:920
	global_load_dword v70, v[3:4], off offset:984
	;; [unrolled: 1-line block ×3, first 2 shown]
	v_mul_lo_u16 v60, 0xf0, v118
	v_sub_nc_u16 v57, v58, v121
	v_lshlrev_b32_sdwa v78, v74, v20 dst_sel:DWORD dst_unused:UNUSED_PAD src0_sel:DWORD src1_sel:WORD_0
	v_sub_nc_u16 v20, v52, v116
	v_sub_nc_u16 v64, v48, v122
	v_mul_lo_u16 v66, 0xf0, v19
	v_lshlrev_b32_sdwa v82, v74, v67 dst_sel:DWORD dst_unused:UNUSED_PAD src0_sel:DWORD src1_sel:WORD_0
	v_mul_lo_u16 v67, 0xf0, v119
	v_lshlrev_b32_sdwa v77, v74, v112 dst_sel:DWORD dst_unused:UNUSED_PAD src0_sel:DWORD src1_sel:WORD_0
	v_lshlrev_b32_sdwa v76, v74, v113 dst_sel:DWORD dst_unused:UNUSED_PAD src0_sel:DWORD src1_sel:WORD_0
	;; [unrolled: 1-line block ×6, first 2 shown]
	v_sub_nc_u16 v64, v50, v123
	v_sub_nc_u16 v68, v53, v60
	;; [unrolled: 1-line block ×4, first 2 shown]
	s_clause 0x3
	global_load_dword v65, v77, s[12:13] offset:920
	global_load_dword v61, v79, s[12:13] offset:920
	;; [unrolled: 1-line block ×4, first 2 shown]
	v_lshlrev_b32_sdwa v85, v74, v64 dst_sel:DWORD dst_unused:UNUSED_PAD src0_sel:DWORD src1_sel:WORD_0
	s_clause 0x3
	global_load_dword v64, v82, s[12:13] offset:920
	global_load_dword v57, v80, s[12:13] offset:920
	;; [unrolled: 1-line block ×4, first 2 shown]
	v_lshlrev_b32_sdwa v84, v74, v68 dst_sel:DWORD dst_unused:UNUSED_PAD src0_sel:DWORD src1_sel:WORD_0
	v_lshlrev_b32_sdwa v87, v74, v66 dst_sel:DWORD dst_unused:UNUSED_PAD src0_sel:DWORD src1_sel:WORD_0
	;; [unrolled: 1-line block ×3, first 2 shown]
	global_load_dword v67, v85, s[12:13] offset:920
	v_lshrrev_b32_e32 v88, 24, v12
	s_clause 0x2
	global_load_dword v68, v84, s[12:13] offset:920
	global_load_dword v69, v87, s[12:13] offset:920
	;; [unrolled: 1-line block ×3, first 2 shown]
	v_lshrrev_b32_e32 v12, 24, v9
	v_lshrrev_b32_e32 v9, 24, v11
	v_mul_u32_u24_e32 v89, 0x780, v17
	v_mul_lo_u16 v100, 0x1e0, v10
	v_add_nc_u32_e32 v10, 0, v78
	v_mul_u32_u24_e32 v11, 0x780, v15
	v_mul_lo_u16 v104, 0x1e0, v9
	v_sub_nc_u16 v9, v58, v5
	v_mul_u32_u24_e32 v15, 0x780, v6
	v_add_nc_u32_e32 v110, 0x1680, v10
	v_mul_u32_u24_e32 v19, 0x780, v19
	v_add3_u32 v105, 0, v16, v81
	v_lshlrev_b32_sdwa v17, v74, v9 dst_sel:DWORD dst_unused:UNUSED_PAD src0_sel:DWORD src1_sel:WORD_0
	v_add_nc_u32_e32 v9, 0, v76
	v_add3_u32 v52, 0, v15, v79
	v_add3_u32 v107, 0, v18, v85
	;; [unrolled: 1-line block ×3, first 2 shown]
	v_add_nc_u32_e32 v15, 0, v80
	v_add_nc_u32_e32 v109, 0xf00, v9
	ds_read2st64_b32 v[9:10], v72 offset0:30 offset1:32
	v_add_nc_u32_e32 v16, 0, v82
	v_add_nc_u32_e32 v18, 0, v84
	;; [unrolled: 1-line block ×3, first 2 shown]
	v_mul_lo_u16 v99, 0x1e0, v88
	v_add3_u32 v11, 0, v11, v77
	v_add3_u32 v106, 0, v89, v83
	v_add_nc_u32_e32 v111, 0x1e00, v15
	v_add_nc_u32_e32 v112, 0x2580, v16
	;; [unrolled: 1-line block ×4, first 2 shown]
	ds_read2st64_b32 v[15:16], v72 offset0:34 offset1:36
	ds_read2st64_b32 v[18:19], v72 offset1:2
	ds_read2st64_b32 v[76:77], v72 offset0:38 offset1:40
	ds_read2st64_b32 v[78:79], v72 offset0:42 offset1:44
	ds_read_b32 v115, v51
	ds_read_b32 v116, v72 offset:14848
	ds_read2st64_b32 v[80:81], v72 offset0:46 offset1:48
	ds_read2st64_b32 v[82:83], v72 offset0:4 offset1:6
	;; [unrolled: 1-line block ×9, first 2 shown]
	v_mul_lo_u16 v102, 0x1e0, v8
	v_mul_lo_u16 v103, 0x1e0, v7
	v_lshlrev_b64 v[7:8], 2, v[25:26]
	v_add_co_u32 v5, s0, 0x800, v3
	s_waitcnt lgkmcnt(14)
	v_lshrrev_b32_e32 v119, 16, v15
	v_lshrrev_b32_e32 v120, 16, v16
	s_waitcnt lgkmcnt(12)
	v_lshrrev_b32_e32 v121, 16, v76
	v_lshrrev_b32_e32 v117, 16, v9
	;; [unrolled: 1-line block ×4, first 2 shown]
	s_waitcnt lgkmcnt(11)
	v_lshrrev_b32_e32 v123, 16, v78
	v_lshrrev_b32_e32 v124, 16, v79
	s_waitcnt lgkmcnt(8)
	v_lshrrev_b32_e32 v125, 16, v80
	v_lshrrev_b32_e32 v126, 16, v81
	;; [unrolled: 3-line block ×4, first 2 shown]
	v_lshrrev_b32_e32 v131, 16, v116
	v_lshrrev_b32_e32 v132, 16, v18
	;; [unrolled: 1-line block ×8, first 2 shown]
	s_waitcnt lgkmcnt(3)
	v_lshrrev_b32_e32 v139, 16, v90
	v_lshrrev_b32_e32 v140, 16, v91
	s_waitcnt lgkmcnt(2)
	v_lshrrev_b32_e32 v141, 16, v92
	v_lshrrev_b32_e32 v142, 16, v93
	;; [unrolled: 3-line block ×4, first 2 shown]
	v_add_co_ci_u32_e64 v6, s0, 0, v4, s0
	v_add_nc_u32_e32 v98, 0x7c0, v72
	v_add_co_u32 v7, s0, s12, v7
	v_add_co_ci_u32_e64 v8, s0, s13, v8, s0
	v_mul_lo_u16 v101, 0x1e0, v12
	s_waitcnt vmcnt(0)
	s_barrier
	buffer_gl0_inv
	v_mul_f16_sdwa v147, v75, v9 dst_sel:DWORD dst_unused:UNUSED_PAD src0_sel:WORD_1 src1_sel:DWORD
	v_mul_f16_sdwa v148, v75, v117 dst_sel:DWORD dst_unused:UNUSED_PAD src0_sel:WORD_1 src1_sel:DWORD
	;; [unrolled: 1-line block ×6, first 2 shown]
	v_fmac_f16_e32 v147, v75, v117
	v_fma_f16 v9, v75, v9, -v148
	v_fma_f16 v10, v71, v10, -v149
	v_fmac_f16_e32 v150, v71, v118
	v_fmac_f16_e32 v151, v70, v119
	v_fma_f16 v15, v70, v15, -v152
	v_sub_f16_e32 v9, v18, v9
	v_sub_f16_e32 v10, v19, v10
	;; [unrolled: 1-line block ×3, first 2 shown]
	v_mul_f16_sdwa v153, v120, v65 dst_sel:DWORD dst_unused:UNUSED_PAD src0_sel:DWORD src1_sel:WORD_1
	v_mul_f16_sdwa v117, v16, v65 dst_sel:DWORD dst_unused:UNUSED_PAD src0_sel:DWORD src1_sel:WORD_1
	;; [unrolled: 1-line block ×6, first 2 shown]
	v_fma_f16 v16, v16, v65, -v153
	v_mul_f16_sdwa v118, v78, v59 dst_sel:DWORD dst_unused:UNUSED_PAD src0_sel:DWORD src1_sel:WORD_1
	v_mul_f16_sdwa v75, v76, v62 dst_sel:DWORD dst_unused:UNUSED_PAD src0_sel:DWORD src1_sel:WORD_1
	;; [unrolled: 1-line block ×5, first 2 shown]
	v_fmac_f16_e32 v117, v120, v65
	v_mul_f16_sdwa v65, v125, v57 dst_sel:DWORD dst_unused:UNUSED_PAD src0_sel:DWORD src1_sel:WORD_1
	v_mul_f16_sdwa v120, v126, v60 dst_sel:DWORD dst_unused:UNUSED_PAD src0_sel:DWORD src1_sel:WORD_1
	v_fmac_f16_e32 v75, v121, v62
	v_mul_f16_sdwa v121, v81, v60 dst_sel:DWORD dst_unused:UNUSED_PAD src0_sel:DWORD src1_sel:WORD_1
	v_fma_f16 v62, v76, v62, -v148
	v_mul_f16_sdwa v76, v84, v64 dst_sel:DWORD dst_unused:UNUSED_PAD src0_sel:DWORD src1_sel:WORD_1
	v_fma_f16 v77, v77, v61, -v149
	v_mul_f16_sdwa v148, v127, v64 dst_sel:DWORD dst_unused:UNUSED_PAD src0_sel:DWORD src1_sel:WORD_1
	v_mul_f16_sdwa v149, v128, v67 dst_sel:DWORD dst_unused:UNUSED_PAD src0_sel:DWORD src1_sel:WORD_1
	v_fmac_f16_e32 v71, v122, v61
	v_mul_f16_sdwa v61, v85, v67 dst_sel:DWORD dst_unused:UNUSED_PAD src0_sel:DWORD src1_sel:WORD_1
	v_mul_f16_sdwa v122, v88, v68 dst_sel:DWORD dst_unused:UNUSED_PAD src0_sel:DWORD src1_sel:WORD_1
	v_fmac_f16_e32 v118, v123, v59
	v_mul_f16_sdwa v123, v129, v68 dst_sel:DWORD dst_unused:UNUSED_PAD src0_sel:DWORD src1_sel:WORD_1
	v_fma_f16 v59, v78, v59, -v119
	v_mul_f16_sdwa v78, v130, v69 dst_sel:DWORD dst_unused:UNUSED_PAD src0_sel:DWORD src1_sel:WORD_1
	v_fma_f16 v70, v79, v20, -v70
	v_mul_f16_sdwa v79, v89, v69 dst_sel:DWORD dst_unused:UNUSED_PAD src0_sel:DWORD src1_sel:WORD_1
	v_mul_f16_sdwa v119, v131, v66 dst_sel:DWORD dst_unused:UNUSED_PAD src0_sel:DWORD src1_sel:WORD_1
	v_fmac_f16_e32 v152, v124, v20
	v_mul_f16_sdwa v20, v116, v66 dst_sel:DWORD dst_unused:UNUSED_PAD src0_sel:DWORD src1_sel:WORD_1
	v_fmac_f16_e32 v153, v125, v57
	v_fma_f16 v57, v80, v57, -v65
	v_fma_f16 v65, v81, v60, -v120
	v_fmac_f16_e32 v121, v126, v60
	v_fmac_f16_e32 v76, v127, v64
	v_fma_f16 v60, v84, v64, -v148
	v_fma_f16 v64, v85, v67, -v149
	v_fmac_f16_e32 v61, v128, v67
	;; [unrolled: 4-line block ×3, first 2 shown]
	v_fma_f16 v69, v116, v66, -v119
	v_fmac_f16_e32 v20, v131, v66
	v_sub_f16_e32 v66, v132, v147
	v_sub_f16_e32 v78, v133, v150
	;; [unrolled: 1-line block ×27, first 2 shown]
	v_fma_f16 v117, v132, 2.0, -v66
	v_pack_b32_f16 v66, v9, v66
	v_fma_f16 v9, v18, 2.0, -v9
	v_fma_f16 v18, v19, 2.0, -v10
	v_fma_f16 v19, v133, 2.0, -v78
	v_pack_b32_f16 v10, v10, v78
	v_fma_f16 v78, v134, 2.0, -v80
	v_pack_b32_f16 v80, v15, v80
	v_fma_f16 v15, v82, 2.0, -v15
	v_fma_f16 v82, v83, 2.0, -v16
	v_fma_f16 v83, v135, 2.0, -v81
	v_pack_b32_f16 v16, v16, v81
	;; [unrolled: 6-line block ×3, first 2 shown]
	v_fma_f16 v77, v115, 2.0, -v70
	v_fma_f16 v115, v138, 2.0, -v84
	v_pack_b32_f16 v70, v70, v84
	v_fma_f16 v84, v139, 2.0, -v85
	v_pack_b32_f16 v85, v59, v85
	v_fma_f16 v59, v90, 2.0, -v59
	v_fma_f16 v90, v91, 2.0, -v57
	v_fma_f16 v91, v140, 2.0, -v88
	v_pack_b32_f16 v57, v57, v88
	v_fma_f16 v88, v141, 2.0, -v89
	v_pack_b32_f16 v89, v65, v89
	v_fma_f16 v65, v92, 2.0, -v65
	;; [unrolled: 6-line block ×4, first 2 shown]
	v_fma_f16 v96, v97, 2.0, -v69
	v_fma_f16 v97, v146, 2.0, -v20
	v_pack_b32_f16 v9, v9, v117
	v_pack_b32_f16 v18, v18, v19
	;; [unrolled: 1-line block ×16, first 2 shown]
	ds_write2_b32 v72, v9, v66 offset1:240
	ds_write2_b32 v73, v18, v10 offset1:240
	;; [unrolled: 1-line block ×15, first 2 shown]
	v_sub_nc_u16 v9, v48, v99
	s_waitcnt lgkmcnt(0)
	s_barrier
	buffer_gl0_inv
	s_clause 0x7
	global_load_dword v66, v[1:2], off offset:1880
	global_load_dword v61, v[5:6], off offset:344
	global_load_dword v57, v[5:6], off offset:856
	global_load_dword v20, v17, s[12:13] offset:1880
	global_load_dword v59, v[7:8], off offset:1880
	global_load_dword v48, v[5:6], off offset:984
	;; [unrolled: 1-line block ×4, first 2 shown]
	v_sub_nc_u16 v7, v49, v100
	v_sub_nc_u16 v8, v50, v101
	;; [unrolled: 1-line block ×3, first 2 shown]
	v_lshlrev_b32_sdwa v68, v74, v9 dst_sel:DWORD dst_unused:UNUSED_PAD src0_sel:DWORD src1_sel:WORD_0
	v_sub_nc_u16 v9, v54, v103
	v_lshlrev_b32_sdwa v69, v74, v7 dst_sel:DWORD dst_unused:UNUSED_PAD src0_sel:DWORD src1_sel:WORD_0
	v_sub_nc_u16 v7, v55, v104
	v_lshlrev_b32_sdwa v67, v74, v13 dst_sel:DWORD dst_unused:UNUSED_PAD src0_sel:DWORD src1_sel:WORD_0
	v_lshlrev_b32_sdwa v71, v74, v8 dst_sel:DWORD dst_unused:UNUSED_PAD src0_sel:DWORD src1_sel:WORD_0
	;; [unrolled: 1-line block ×5, first 2 shown]
	s_clause 0x6
	global_load_dword v50, v67, s[12:13] offset:1880
	global_load_dword v53, v68, s[12:13] offset:1880
	;; [unrolled: 1-line block ×7, first 2 shown]
	v_add_co_u32 v9, s0, 0x800, v1
	v_add_co_ci_u32_e64 v10, s0, 0, v2, s0
	v_cmp_lt_u32_e64 s0, 0x1df, v56
	v_mul_u32_u24_e32 v78, 0xf00, v12
	v_mul_u32_u24_e32 v77, 0xf00, v14
	v_add_nc_u32_e32 v97, 0, v68
	v_add_nc_u32_e32 v98, 0, v69
	v_cndmask_b32_e64 v56, 0, 0xf00, s0
	v_add_co_u32 v7, s0, 0x1000, v3
	v_add_co_ci_u32_e64 v8, s0, 0, v4, s0
	v_add_co_u32 v16, s0, s12, v42
	v_add_co_ci_u32_e64 v12, s0, s13, v43, s0
	;; [unrolled: 2-line block ×7, first 2 shown]
	v_cmp_gt_u32_e64 s0, 0x3c0, v58
	v_lshlrev_b32_e32 v42, 2, v25
	v_add3_u32 v17, 0, v77, v17
	v_add_nc_u32_e32 v99, 0, v70
	v_add_nc_u32_e32 v100, 0, v73
	v_cndmask_b32_e64 v25, v0, v58, s0
	v_add3_u32 v0, 0, v56, v42
	v_add3_u32 v56, 0, v78, v71
	v_add_nc_u32_e32 v71, 0, v67
	v_add_nc_u32_e32 v101, 0, v74
	v_lshlrev_b64 v[42:43], 2, v[25:26]
	ds_read2st64_b32 v[67:68], v72 offset0:30 offset1:32
	ds_read2st64_b32 v[69:70], v72 offset0:34 offset1:36
	;; [unrolled: 1-line block ×3, first 2 shown]
	ds_read2st64_b32 v[77:78], v72 offset1:2
	v_add_nc_u32_e32 v19, 0x80, v72
	v_add_nc_u32_e32 v18, 0x400, v72
	;; [unrolled: 1-line block ×3, first 2 shown]
	v_add_co_u32 v102, s0, s12, v42
	v_add_co_ci_u32_e64 v103, s0, s13, v43, s0
	ds_read2st64_b32 v[42:43], v72 offset0:38 offset1:40
	ds_read_b32 v104, v51
	ds_read_b32 v105, v72 offset:14848
	ds_read2st64_b32 v[79:80], v72 offset0:8 offset1:10
	ds_read2st64_b32 v[81:82], v72 offset0:12 offset1:16
	;; [unrolled: 1-line block ×9, first 2 shown]
	s_waitcnt vmcnt(0) lgkmcnt(0)
	s_barrier
	buffer_gl0_inv
	v_lshrrev_b32_e32 v106, 16, v67
	v_lshrrev_b32_e32 v107, 16, v69
	;; [unrolled: 1-line block ×30, first 2 shown]
	v_mul_f16_sdwa v138, v61, v110 dst_sel:DWORD dst_unused:UNUSED_PAD src0_sel:WORD_1 src1_sel:DWORD
	v_mul_f16_sdwa v139, v61, v68 dst_sel:DWORD dst_unused:UNUSED_PAD src0_sel:WORD_1 src1_sel:DWORD
	;; [unrolled: 1-line block ×4, first 2 shown]
	v_mul_f16_sdwa v142, v111, v59 dst_sel:DWORD dst_unused:UNUSED_PAD src0_sel:DWORD src1_sel:WORD_1
	v_mul_f16_sdwa v136, v66, v67 dst_sel:DWORD dst_unused:UNUSED_PAD src0_sel:WORD_1 src1_sel:DWORD
	v_mul_f16_sdwa v137, v66, v106 dst_sel:DWORD dst_unused:UNUSED_PAD src0_sel:WORD_1 src1_sel:DWORD
	v_mul_f16_sdwa v143, v70, v59 dst_sel:DWORD dst_unused:UNUSED_PAD src0_sel:DWORD src1_sel:WORD_1
	v_mul_f16_sdwa v144, v42, v60 dst_sel:DWORD dst_unused:UNUSED_PAD src0_sel:DWORD src1_sel:WORD_1
	;; [unrolled: 1-line block ×9, first 2 shown]
	v_fmac_f16_e32 v136, v66, v106
	v_fma_f16 v66, v66, v67, -v137
	v_fma_f16 v68, v61, v68, -v138
	v_mul_f16_sdwa v152, v85, v50 dst_sel:DWORD dst_unused:UNUSED_PAD src0_sel:DWORD src1_sel:WORD_1
	v_mul_f16_sdwa v153, v121, v50 dst_sel:DWORD dst_unused:UNUSED_PAD src0_sel:DWORD src1_sel:WORD_1
	;; [unrolled: 1-line block ×13, first 2 shown]
	v_fmac_f16_e32 v139, v61, v110
	v_mul_f16_sdwa v61, v105, v65 dst_sel:DWORD dst_unused:UNUSED_PAD src0_sel:DWORD src1_sel:WORD_1
	v_fmac_f16_e32 v140, v57, v107
	v_fma_f16 v57, v57, v69, -v141
	v_fma_f16 v69, v70, v59, -v142
	v_fmac_f16_e32 v143, v111, v59
	v_fmac_f16_e32 v144, v112, v60
	v_fma_f16 v42, v42, v60, -v145
	v_fma_f16 v43, v43, v52, -v146
	v_fmac_f16_e32 v147, v113, v52
	;; [unrolled: 4-line block ×6, first 2 shown]
	v_fma_f16 v60, v105, v65, -v138
	v_fmac_f16_e32 v61, v127, v65
	v_sub_f16_e32 v62, v108, v140
	v_sub_f16_e32 v57, v73, v57
	;; [unrolled: 1-line block ×30, first 2 shown]
	v_fma_f16 v106, v108, 2.0, -v62
	v_fma_f16 v73, v73, 2.0, -v57
	v_pack_b32_f16 v107, v64, v65
	v_fma_f16 v64, v77, 2.0, -v64
	v_fma_f16 v77, v78, 2.0, -v66
	v_pack_b32_f16 v57, v57, v62
	v_pack_b32_f16 v62, v66, v67
	v_fma_f16 v65, v109, 2.0, -v65
	v_fma_f16 v66, v114, 2.0, -v67
	v_fma_f16 v67, v74, 2.0, -v68
	v_fma_f16 v74, v115, 2.0, -v69
	v_pack_b32_f16 v68, v68, v69
	v_fma_f16 v69, v79, 2.0, -v42
	v_fma_f16 v78, v80, 2.0, -v43
	v_fma_f16 v79, v116, 2.0, -v70
	v_fma_f16 v80, v117, 2.0, -v83
	;; [unrolled: 5-line block ×3, first 2 shown]
	v_fma_f16 v88, v88, 2.0, -v53
	v_fma_f16 v91, v91, 2.0, -v54
	;; [unrolled: 1-line block ×5, first 2 shown]
	v_pack_b32_f16 v43, v43, v83
	v_pack_b32_f16 v48, v48, v84
	v_fma_f16 v83, v104, 2.0, -v52
	v_fma_f16 v84, v135, 2.0, -v85
	v_pack_b32_f16 v52, v52, v85
	v_fma_f16 v85, v128, 2.0, -v86
	v_pack_b32_f16 v20, v20, v86
	;; [unrolled: 2-line block ×6, first 2 shown]
	v_fma_f16 v94, v133, 2.0, -v105
	v_fma_f16 v104, v134, 2.0, -v61
	v_pack_b32_f16 v60, v60, v61
	v_pack_b32_f16 v61, v73, v106
	ds_write2st64_b32 v19, v62, v57 offset0:9 offset1:11
	v_pack_b32_f16 v57, v64, v65
	v_pack_b32_f16 v62, v77, v66
	;; [unrolled: 1-line block ×15, first 2 shown]
	ds_write2_b32 v18, v61, v107 offset1:224
	ds_write2st64_b32 v72, v57, v62 offset1:2
	ds_write_b32 v0, v64
	ds_write_b32 v0, v68 offset:1920
	ds_write2st64_b32 v19, v65, v66 offset0:15 offset1:17
	ds_write2_b32 v49, v67, v42 offset1:224
	ds_write2st64_b32 v72, v43, v48 offset0:25 offset1:27
	ds_write_b32 v17, v69
	ds_write_b32 v17, v52 offset:1920
	ds_write_b32 v71, v70 offset:7680
	;; [unrolled: 1-line block ×7, first 2 shown]
	ds_write_b32 v56, v77
	ds_write_b32 v56, v54 offset:1920
	ds_write_b32 v99, v78 offset:11520
	;; [unrolled: 1-line block ×7, first 2 shown]
	v_add_co_u32 v48, s0, 0x800, v102
	v_add_co_ci_u32_e64 v49, s0, 0, v103, s0
	s_waitcnt lgkmcnt(0)
	s_barrier
	buffer_gl0_inv
	s_clause 0xb
	global_load_dword v19, v[9:10], off offset:1752
	global_load_dword v10, v[7:8], off offset:216
	;; [unrolled: 1-line block ×12, first 2 shown]
	v_add_co_u32 v5, s0, 0x1800, v3
	v_add_co_ci_u32_e64 v6, s0, 0, v4, s0
	s_clause 0x2
	global_load_dword v49, v[5:6], off offset:472
	global_load_dword v48, v[5:6], off offset:984
	;; [unrolled: 1-line block ×3, first 2 shown]
	v_add_co_u32 v0, s0, 0x1800, v1
	v_add_co_ci_u32_e64 v1, s0, 0, v2, s0
	v_add_co_u32 v2, s0, s12, v63
	v_add_co_ci_u32_e64 v8, null, s13, 0, s0
	v_cmp_lt_u32_e64 s0, 0x3bf, v58
	v_cndmask_b32_e64 v52, 0, 0x1e00, s0
	v_add_co_u32 v7, s0, 0x1800, v2
	v_add_co_ci_u32_e64 v8, s0, 0, v8, s0
	v_add_co_u32 v2, s0, 0x2000, v3
	v_add_co_ci_u32_e64 v3, s0, 0, v4, s0
	v_add_co_u32 v4, s0, s12, v28
	v_add_co_ci_u32_e64 v53, s0, s13, v29, s0
	v_add_co_u32 v54, s0, s12, v30
	v_add_co_ci_u32_e64 v55, s0, s13, v31, s0
	v_add_co_u32 v73, s0, s12, v32
	v_add_co_ci_u32_e64 v74, s0, s13, v33, s0
	v_add_co_u32 v75, s0, s12, v34
	v_add_co_ci_u32_e64 v76, s0, s13, v35, s0
	v_add_co_u32 v77, s0, s12, v36
	v_add_co_ci_u32_e64 v78, s0, s13, v37, s0
	v_add_co_u32 v79, s0, s12, v38
	v_add_co_ci_u32_e64 v80, s0, s13, v39, s0
	v_add_co_u32 v81, s0, s12, v40
	v_add_co_ci_u32_e64 v82, s0, s13, v41, s0
	v_add_co_u32 v28, s0, 0x1800, v16
	v_add_co_ci_u32_e64 v29, s0, 0, v12, s0
	v_add_co_u32 v12, s0, 0x1800, v13
	v_add_co_ci_u32_e64 v13, s0, 0, v14, s0
	ds_read2st64_b32 v[34:35], v72 offset0:30 offset1:32
	v_add_co_u32 v14, s0, 0x1800, v15
	v_add_co_ci_u32_e64 v15, s0, 0, v11, s0
	v_add_co_u32 v30, s0, 0x1800, v4
	v_lshlrev_b32_e32 v4, 2, v25
	v_add_co_ci_u32_e64 v31, s0, 0, v53, s0
	v_add_co_u32 v32, s0, 0x1800, v54
	v_add_co_ci_u32_e64 v33, s0, 0, v55, s0
	v_add3_u32 v4, 0, v52, v4
	ds_read2st64_b32 v[36:37], v72 offset0:34 offset1:36
	ds_read2st64_b32 v[38:39], v72 offset0:38 offset1:40
	;; [unrolled: 1-line block ×6, first 2 shown]
	ds_read2st64_b32 v[58:59], v72 offset1:2
	ds_read2st64_b32 v[60:61], v72 offset0:4 offset1:6
	ds_read_b32 v11, v72 offset:14848
	ds_read_b32 v16, v51
	ds_read2st64_b32 v[62:63], v72 offset0:8 offset1:10
	ds_read2st64_b32 v[64:65], v72 offset0:12 offset1:16
	;; [unrolled: 1-line block ×5, first 2 shown]
	s_waitcnt vmcnt(0) lgkmcnt(0)
	s_barrier
	buffer_gl0_inv
	v_lshrrev_b32_e32 v25, 16, v34
	v_lshrrev_b32_e32 v83, 16, v35
	;; [unrolled: 1-line block ×30, first 2 shown]
	v_mul_f16_sdwa v116, v43, v36 dst_sel:DWORD dst_unused:UNUSED_PAD src0_sel:WORD_1 src1_sel:DWORD
	v_mul_f16_sdwa v117, v43, v84 dst_sel:DWORD dst_unused:UNUSED_PAD src0_sel:WORD_1 src1_sel:DWORD
	v_mul_f16_sdwa v118, v85, v42 dst_sel:DWORD dst_unused:UNUSED_PAD src0_sel:DWORD src1_sel:WORD_1
	v_mul_f16_sdwa v120, v38, v20 dst_sel:DWORD dst_unused:UNUSED_PAD src0_sel:DWORD src1_sel:WORD_1
	;; [unrolled: 1-line block ×5, first 2 shown]
	v_mul_f16_sdwa v112, v19, v34 dst_sel:DWORD dst_unused:UNUSED_PAD src0_sel:WORD_1 src1_sel:DWORD
	v_mul_f16_sdwa v113, v19, v25 dst_sel:DWORD dst_unused:UNUSED_PAD src0_sel:WORD_1 src1_sel:DWORD
	;; [unrolled: 1-line block ×4, first 2 shown]
	v_mul_f16_sdwa v125, v88, v9 dst_sel:DWORD dst_unused:UNUSED_PAD src0_sel:DWORD src1_sel:WORD_1
	v_mul_f16_sdwa v130, v91, v46 dst_sel:DWORD dst_unused:UNUSED_PAD src0_sel:DWORD src1_sel:WORD_1
	;; [unrolled: 1-line block ×19, first 2 shown]
	v_fmac_f16_e32 v112, v19, v25
	v_fma_f16 v19, v19, v34, -v113
	v_fma_f16 v25, v10, v35, -v114
	v_fmac_f16_e32 v115, v10, v83
	v_fmac_f16_e32 v116, v43, v84
	v_fma_f16 v10, v43, v36, -v117
	v_fma_f16 v34, v37, v42, -v118
	v_fmac_f16_e32 v120, v86, v20
	v_fma_f16 v20, v38, v20, -v121
	v_fma_f16 v35, v39, v17, -v122
	v_fmac_f16_e32 v124, v88, v9
	v_fma_f16 v9, v40, v9, -v125
	v_fma_f16 v36, v53, v46, -v130
	v_fma_f16 v38, v55, v44, -v134
	v_fma_f16 v40, v57, v49, -v138
	v_fmac_f16_e32 v119, v85, v42
	v_fmac_f16_e32 v123, v87, v17
	v_fma_f16 v17, v41, v18, -v126
	v_fmac_f16_e32 v127, v89, v18
	v_fmac_f16_e32 v128, v90, v47
	;; [unrolled: 3-line block ×4, first 2 shown]
	v_fma_f16 v39, v56, v50, -v137
	v_fmac_f16_e32 v139, v95, v49
	v_fma_f16 v11, v11, v48, -v140
	v_fmac_f16_e32 v141, v96, v48
	v_sub_f16_e32 v25, v59, v25
	v_sub_f16_e32 v41, v97, v115
	;; [unrolled: 1-line block ×30, first 2 shown]
	v_pack_b32_f16 v57, v25, v41
	v_pack_b32_f16 v83, v10, v42
	v_fma_f16 v10, v60, 2.0, -v10
	v_fma_f16 v60, v61, 2.0, -v34
	v_pack_b32_f16 v61, v20, v44
	v_fma_f16 v20, v62, 2.0, -v20
	v_fma_f16 v62, v63, 2.0, -v35
	;; [unrolled: 3-line block ×3, first 2 shown]
	v_fma_f16 v41, v97, 2.0, -v41
	v_fma_f16 v9, v64, 2.0, -v9
	;; [unrolled: 1-line block ×6, first 2 shown]
	v_pack_b32_f16 v34, v34, v43
	v_fma_f16 v42, v98, 2.0, -v42
	v_fma_f16 v43, v99, 2.0, -v43
	v_pack_b32_f16 v35, v35, v45
	v_fma_f16 v44, v100, 2.0, -v44
	v_fma_f16 v45, v101, 2.0, -v45
	v_fma_f16 v46, v102, 2.0, -v46
	v_pack_b32_f16 v19, v19, v47
	v_fma_f16 v16, v16, 2.0, -v17
	v_fma_f16 v47, v111, 2.0, -v48
	;; [unrolled: 1-line block ×6, first 2 shown]
	v_pack_b32_f16 v17, v17, v48
	v_fma_f16 v48, v104, 2.0, -v49
	v_pack_b32_f16 v18, v18, v49
	v_fma_f16 v49, v105, 2.0, -v50
	;; [unrolled: 2-line block ×7, first 2 shown]
	ds_write2st64_b32 v72, v57, v83 offset0:17 offset1:19
	ds_write2st64_b32 v72, v34, v61 offset0:21 offset1:23
	;; [unrolled: 1-line block ×3, first 2 shown]
	v_pack_b32_f16 v34, v58, v70
	v_pack_b32_f16 v25, v25, v41
	;; [unrolled: 1-line block ×16, first 2 shown]
	ds_write2st64_b32 v72, v34, v25 offset1:2
	ds_write2st64_b32 v72, v10, v35 offset0:4 offset1:6
	ds_write2st64_b32 v72, v20, v41 offset0:8 offset1:10
	ds_write2st64_b32 v72, v9, v19 offset0:12 offset1:15
	ds_write2st64_b32 v4, v16, v17 offset1:15
	ds_write2st64_b32 v72, v42, v43 offset0:31 offset1:33
	ds_write2st64_b32 v72, v36, v37 offset0:48 offset1:50
	;; [unrolled: 1-line block ×7, first 2 shown]
	s_waitcnt lgkmcnt(0)
	s_barrier
	buffer_gl0_inv
	s_clause 0x7
	global_load_dword v20, v[2:3], off offset:472
	global_load_dword v25, v[2:3], off offset:984
	;; [unrolled: 1-line block ×8, first 2 shown]
	v_add_co_u32 v0, s0, 0x1800, v73
	v_add_co_ci_u32_e64 v1, s0, 0, v74, s0
	v_add_co_u32 v2, s0, 0x1800, v75
	v_add_co_ci_u32_e64 v3, s0, 0, v76, s0
	;; [unrolled: 2-line block ×4, first 2 shown]
	s_clause 0x3
	global_load_dword v42, v[30:31], off offset:1496
	global_load_dword v43, v[32:33], off offset:1496
	;; [unrolled: 1-line block ×4, first 2 shown]
	v_add_co_u32 v0, s0, 0x1800, v81
	v_add_co_ci_u32_e64 v1, s0, 0, v82, s0
	s_clause 0x2
	global_load_dword v46, v[4:5], off offset:1496
	global_load_dword v47, v[6:7], off offset:1496
	;; [unrolled: 1-line block ×3, first 2 shown]
	ds_read2st64_b32 v[0:1], v72 offset1:2
	ds_read2st64_b32 v[2:3], v72 offset0:4 offset1:6
	ds_read2st64_b32 v[4:5], v72 offset0:34 offset1:36
	;; [unrolled: 1-line block ×13, first 2 shown]
	ds_read_b32 v49, v72 offset:14848
	ds_read_b32 v50, v51
	s_waitcnt vmcnt(0) lgkmcnt(0)
	s_barrier
	buffer_gl0_inv
	v_lshrrev_b32_e32 v52, 16, v0
	v_lshrrev_b32_e32 v53, 16, v1
	;; [unrolled: 1-line block ×30, first 2 shown]
	v_mul_f16_sdwa v87, v20, v4 dst_sel:DWORD dst_unused:UNUSED_PAD src0_sel:WORD_1 src1_sel:DWORD
	v_mul_f16_sdwa v88, v20, v62 dst_sel:DWORD dst_unused:UNUSED_PAD src0_sel:WORD_1 src1_sel:DWORD
	v_mul_f16_sdwa v89, v56, v25 dst_sel:DWORD dst_unused:UNUSED_PAD src0_sel:DWORD src1_sel:WORD_1
	v_mul_f16_sdwa v90, v5, v25 dst_sel:DWORD dst_unused:UNUSED_PAD src0_sel:DWORD src1_sel:WORD_1
	;; [unrolled: 1-line block ×4, first 2 shown]
	v_mul_f16_sdwa v83, v40, v8 dst_sel:DWORD dst_unused:UNUSED_PAD src0_sel:WORD_1 src1_sel:DWORD
	v_mul_f16_sdwa v84, v40, v58 dst_sel:DWORD dst_unused:UNUSED_PAD src0_sel:WORD_1 src1_sel:DWORD
	;; [unrolled: 1-line block ×4, first 2 shown]
	v_mul_f16_sdwa v93, v63, v37 dst_sel:DWORD dst_unused:UNUSED_PAD src0_sel:DWORD src1_sel:WORD_1
	v_mul_f16_sdwa v94, v11, v37 dst_sel:DWORD dst_unused:UNUSED_PAD src0_sel:DWORD src1_sel:WORD_1
	;; [unrolled: 1-line block ×6, first 2 shown]
	v_fmac_f16_e32 v83, v40, v58
	v_fma_f16 v8, v40, v8, -v84
	v_fma_f16 v9, v41, v9, -v85
	v_fmac_f16_e32 v86, v41, v60
	v_fmac_f16_e32 v87, v20, v62
	v_mul_f16_sdwa v99, v16, v42 dst_sel:DWORD dst_unused:UNUSED_PAD src0_sel:DWORD src1_sel:WORD_1
	v_mul_f16_sdwa v100, v68, v42 dst_sel:DWORD dst_unused:UNUSED_PAD src0_sel:DWORD src1_sel:WORD_1
	;; [unrolled: 1-line block ×14, first 2 shown]
	v_fma_f16 v4, v20, v4, -v88
	v_fma_f16 v5, v5, v25, -v89
	v_fmac_f16_e32 v90, v56, v25
	v_fmac_f16_e32 v91, v59, v36
	v_fma_f16 v10, v10, v36, -v92
	v_fma_f16 v11, v11, v37, -v93
	v_fmac_f16_e32 v94, v63, v37
	v_fmac_f16_e32 v95, v65, v38
	;; [unrolled: 4-line block ×5, first 2 shown]
	v_fma_f16 v28, v32, v46, -v108
	v_fma_f16 v29, v33, v47, -v109
	v_fmac_f16_e32 v110, v74, v47
	v_fma_f16 v32, v49, v48, -v111
	v_fmac_f16_e32 v112, v75, v48
	v_sub_f16_e32 v8, v0, v8
	v_sub_f16_e32 v9, v1, v9
	;; [unrolled: 1-line block ×30, first 2 shown]
	v_fma_f16 v0, v0, 2.0, -v8
	v_fma_f16 v1, v1, 2.0, -v9
	;; [unrolled: 1-line block ×3, first 2 shown]
	v_pack_b32_f16 v8, v8, v33
	v_fma_f16 v33, v53, 2.0, -v36
	v_fma_f16 v2, v2, 2.0, -v4
	;; [unrolled: 1-line block ×3, first 2 shown]
	v_pack_b32_f16 v9, v9, v36
	v_fma_f16 v36, v54, 2.0, -v37
	v_pack_b32_f16 v4, v4, v37
	v_fma_f16 v37, v55, 2.0, -v38
	v_fma_f16 v6, v6, 2.0, -v10
	;; [unrolled: 1-line block ×3, first 2 shown]
	v_pack_b32_f16 v5, v5, v38
	v_fma_f16 v38, v57, 2.0, -v39
	v_fma_f16 v53, v61, 2.0, -v40
	;; [unrolled: 1-line block ×20, first 2 shown]
	v_pack_b32_f16 v10, v10, v39
	v_pack_b32_f16 v11, v11, v40
	;; [unrolled: 1-line block ×7, first 2 shown]
	ds_write2st64_b32 v72, v4, v5 offset0:34 offset1:36
	v_pack_b32_f16 v4, v6, v38
	v_pack_b32_f16 v5, v7, v53
	;; [unrolled: 1-line block ×12, first 2 shown]
	ds_write2st64_b32 v72, v8, v9 offset0:30 offset1:32
	ds_write2st64_b32 v72, v10, v11 offset0:38 offset1:40
	ds_write_b32 v72, v14 offset:10752
	v_pack_b32_f16 v8, v13, v56
	v_pack_b32_f16 v9, v18, v57
	;; [unrolled: 1-line block ×7, first 2 shown]
	ds_write2st64_b32 v72, v0, v1 offset1:2
	ds_write2st64_b32 v72, v2, v3 offset0:4 offset1:6
	ds_write2st64_b32 v72, v4, v5 offset0:8 offset1:10
	ds_write_b32 v72, v6 offset:3072
	ds_write2st64_b32 v51, v7, v15 offset1:30
	ds_write2st64_b32 v72, v8, v9 offset0:16 offset1:18
	ds_write2st64_b32 v72, v16, v17 offset0:46 offset1:48
	;; [unrolled: 1-line block ×6, first 2 shown]
	ds_write_b32 v72, v14 offset:7168
	ds_write_b32 v72, v32 offset:14848
	s_waitcnt lgkmcnt(0)
	s_barrier
	buffer_gl0_inv
	s_and_saveexec_b32 s0, vcc_lo
	s_cbranch_execz .LBB0_21
; %bb.20:
	v_mul_lo_u32 v2, s3, v23
	v_mul_lo_u32 v3, s2, v24
	v_mad_u64_u32 v[0:1], null, s2, v23, 0
	v_lshl_add_u32 v16, v27, 2, 0
	v_mov_b32_e32 v28, v26
	v_add_nc_u32_e32 v25, 0x80, v27
	ds_read2st64_b32 v[6:7], v16 offset1:2
	v_add3_u32 v1, v1, v3, v2
	v_lshlrev_b64 v[2:3], 2, v[21:22]
	v_lshlrev_b64 v[8:9], 2, v[27:28]
	;; [unrolled: 1-line block ×3, first 2 shown]
	v_add_nc_u32_e32 v25, 0x100, v27
	v_lshlrev_b64 v[0:1], 2, v[0:1]
	ds_read2st64_b32 v[10:11], v16 offset0:4 offset1:6
	v_lshlrev_b64 v[12:13], 2, v[25:26]
	v_add_nc_u32_e32 v25, 0x180, v27
	v_add_co_u32 v0, vcc_lo, s10, v0
	v_add_co_ci_u32_e32 v1, vcc_lo, s11, v1, vcc_lo
	v_add_co_u32 v17, vcc_lo, v0, v2
	v_add_co_ci_u32_e32 v18, vcc_lo, v1, v3, vcc_lo
	v_lshlrev_b64 v[0:1], 2, v[25:26]
	v_add_co_u32 v2, vcc_lo, v17, v8
	v_add_co_ci_u32_e32 v3, vcc_lo, v18, v9, vcc_lo
	v_add_co_u32 v4, vcc_lo, v17, v4
	v_add_nc_u32_e32 v25, 0x200, v27
	s_waitcnt lgkmcnt(1)
	global_store_dword v[2:3], v6, off
	ds_read2st64_b32 v[2:3], v16 offset0:8 offset1:10
	v_add_co_ci_u32_e32 v5, vcc_lo, v18, v5, vcc_lo
	v_add_co_u32 v8, vcc_lo, v17, v12
	v_add_co_ci_u32_e32 v9, vcc_lo, v18, v13, vcc_lo
	v_lshlrev_b64 v[12:13], 2, v[25:26]
	v_add_nc_u32_e32 v25, 0x280, v27
	v_add_co_u32 v0, vcc_lo, v17, v0
	v_add_co_ci_u32_e32 v1, vcc_lo, v18, v1, vcc_lo
	v_lshlrev_b64 v[14:15], 2, v[25:26]
	v_add_nc_u32_e32 v25, 0x300, v27
	v_add_co_u32 v12, vcc_lo, v17, v12
	v_add_co_ci_u32_e32 v13, vcc_lo, v18, v13, vcc_lo
	global_store_dword v[4:5], v7, off
	s_waitcnt lgkmcnt(1)
	global_store_dword v[8:9], v10, off
	global_store_dword v[0:1], v11, off
	s_waitcnt lgkmcnt(0)
	global_store_dword v[12:13], v2, off
	v_lshlrev_b64 v[0:1], 2, v[25:26]
	v_add_nc_u32_e32 v25, 0x380, v27
	ds_read2st64_b32 v[6:7], v16 offset0:12 offset1:14
	ds_read2st64_b32 v[10:11], v16 offset0:16 offset1:18
	v_add_co_u32 v4, vcc_lo, v17, v14
	v_lshlrev_b64 v[8:9], 2, v[25:26]
	v_add_nc_u32_e32 v25, 0x400, v27
	v_add_co_ci_u32_e32 v5, vcc_lo, v18, v15, vcc_lo
	v_add_co_u32 v0, vcc_lo, v17, v0
	v_lshlrev_b64 v[12:13], 2, v[25:26]
	v_add_nc_u32_e32 v25, 0x480, v27
	v_add_co_ci_u32_e32 v1, vcc_lo, v18, v1, vcc_lo
	v_add_co_u32 v8, vcc_lo, v17, v8
	v_add_co_ci_u32_e32 v9, vcc_lo, v18, v9, vcc_lo
	v_lshlrev_b64 v[14:15], 2, v[25:26]
	v_add_nc_u32_e32 v25, 0x500, v27
	v_add_co_u32 v12, vcc_lo, v17, v12
	v_add_co_ci_u32_e32 v13, vcc_lo, v18, v13, vcc_lo
	global_store_dword v[4:5], v3, off
	s_waitcnt lgkmcnt(1)
	global_store_dword v[0:1], v6, off
	global_store_dword v[8:9], v7, off
	s_waitcnt lgkmcnt(0)
	global_store_dword v[12:13], v10, off
	v_lshlrev_b64 v[0:1], 2, v[25:26]
	v_add_nc_u32_e32 v25, 0x580, v27
	ds_read2st64_b32 v[4:5], v16 offset0:20 offset1:22
	ds_read2st64_b32 v[8:9], v16 offset0:24 offset1:26
	v_add_co_u32 v2, vcc_lo, v17, v14
	v_lshlrev_b64 v[6:7], 2, v[25:26]
	v_add_nc_u32_e32 v25, 0x600, v27
	v_add_co_ci_u32_e32 v3, vcc_lo, v18, v15, vcc_lo
	v_add_co_u32 v0, vcc_lo, v17, v0
	v_lshlrev_b64 v[12:13], 2, v[25:26]
	v_add_nc_u32_e32 v25, 0x680, v27
	v_add_co_ci_u32_e32 v1, vcc_lo, v18, v1, vcc_lo
	v_add_co_u32 v6, vcc_lo, v17, v6
	v_add_co_ci_u32_e32 v7, vcc_lo, v18, v7, vcc_lo
	v_lshlrev_b64 v[14:15], 2, v[25:26]
	v_add_nc_u32_e32 v25, 0x700, v27
	v_add_co_u32 v12, vcc_lo, v17, v12
	v_add_co_ci_u32_e32 v13, vcc_lo, v18, v13, vcc_lo
	global_store_dword v[2:3], v11, off
	s_waitcnt lgkmcnt(1)
	global_store_dword v[0:1], v4, off
	global_store_dword v[6:7], v5, off
	s_waitcnt lgkmcnt(0)
	global_store_dword v[12:13], v8, off
	v_lshlrev_b64 v[0:1], 2, v[25:26]
	v_add_nc_u32_e32 v25, 0x780, v27
	ds_read2st64_b32 v[4:5], v16 offset0:28 offset1:30
	ds_read2st64_b32 v[10:11], v16 offset0:32 offset1:34
	v_add_co_u32 v2, vcc_lo, v17, v14
	v_lshlrev_b64 v[6:7], 2, v[25:26]
	v_add_nc_u32_e32 v25, 0x800, v27
	v_add_co_ci_u32_e32 v3, vcc_lo, v18, v15, vcc_lo
	v_add_co_u32 v0, vcc_lo, v17, v0
	v_lshlrev_b64 v[12:13], 2, v[25:26]
	v_add_nc_u32_e32 v25, 0x880, v27
	v_add_co_ci_u32_e32 v1, vcc_lo, v18, v1, vcc_lo
	v_add_co_u32 v6, vcc_lo, v17, v6
	v_add_co_ci_u32_e32 v7, vcc_lo, v18, v7, vcc_lo
	v_lshlrev_b64 v[14:15], 2, v[25:26]
	v_add_nc_u32_e32 v25, 0x900, v27
	v_add_co_u32 v12, vcc_lo, v17, v12
	v_add_co_ci_u32_e32 v13, vcc_lo, v18, v13, vcc_lo
	global_store_dword v[2:3], v9, off
	s_waitcnt lgkmcnt(1)
	global_store_dword v[0:1], v4, off
	global_store_dword v[6:7], v5, off
	s_waitcnt lgkmcnt(0)
	global_store_dword v[12:13], v10, off
	v_lshlrev_b64 v[0:1], 2, v[25:26]
	v_add_nc_u32_e32 v25, 0x980, v27
	ds_read2st64_b32 v[4:5], v16 offset0:36 offset1:38
	ds_read2st64_b32 v[8:9], v16 offset0:40 offset1:42
	v_add_co_u32 v2, vcc_lo, v17, v14
	v_lshlrev_b64 v[6:7], 2, v[25:26]
	v_add_nc_u32_e32 v25, 0xa00, v27
	v_add_co_ci_u32_e32 v3, vcc_lo, v18, v15, vcc_lo
	v_add_co_u32 v0, vcc_lo, v17, v0
	v_lshlrev_b64 v[12:13], 2, v[25:26]
	v_add_nc_u32_e32 v25, 0xa80, v27
	v_add_co_ci_u32_e32 v1, vcc_lo, v18, v1, vcc_lo
	v_add_co_u32 v6, vcc_lo, v17, v6
	v_add_co_ci_u32_e32 v7, vcc_lo, v18, v7, vcc_lo
	v_lshlrev_b64 v[14:15], 2, v[25:26]
	v_add_nc_u32_e32 v25, 0xb00, v27
	v_add_co_u32 v12, vcc_lo, v17, v12
	v_add_co_ci_u32_e32 v13, vcc_lo, v18, v13, vcc_lo
	global_store_dword v[2:3], v11, off
	s_waitcnt lgkmcnt(1)
	global_store_dword v[0:1], v4, off
	global_store_dword v[6:7], v5, off
	s_waitcnt lgkmcnt(0)
	global_store_dword v[12:13], v8, off
	v_lshlrev_b64 v[0:1], 2, v[25:26]
	v_add_nc_u32_e32 v25, 0xb80, v27
	ds_read2st64_b32 v[4:5], v16 offset0:44 offset1:46
	ds_read2st64_b32 v[10:11], v16 offset0:48 offset1:50
	v_add_co_u32 v2, vcc_lo, v17, v14
	v_lshlrev_b64 v[6:7], 2, v[25:26]
	v_add_nc_u32_e32 v25, 0xc00, v27
	v_add_co_ci_u32_e32 v3, vcc_lo, v18, v15, vcc_lo
	v_add_co_u32 v0, vcc_lo, v17, v0
	v_lshlrev_b64 v[12:13], 2, v[25:26]
	v_add_nc_u32_e32 v25, 0xc80, v27
	v_add_co_ci_u32_e32 v1, vcc_lo, v18, v1, vcc_lo
	v_add_co_u32 v6, vcc_lo, v17, v6
	v_add_co_ci_u32_e32 v7, vcc_lo, v18, v7, vcc_lo
	v_lshlrev_b64 v[14:15], 2, v[25:26]
	v_add_nc_u32_e32 v25, 0xd00, v27
	v_add_co_u32 v12, vcc_lo, v17, v12
	v_add_co_ci_u32_e32 v13, vcc_lo, v18, v13, vcc_lo
	global_store_dword v[2:3], v9, off
	s_waitcnt lgkmcnt(1)
	global_store_dword v[0:1], v4, off
	global_store_dword v[6:7], v5, off
	s_waitcnt lgkmcnt(0)
	global_store_dword v[12:13], v10, off
	v_lshlrev_b64 v[0:1], 2, v[25:26]
	v_add_nc_u32_e32 v25, 0xd80, v27
	ds_read2st64_b32 v[4:5], v16 offset0:52 offset1:54
	ds_read2st64_b32 v[8:9], v16 offset0:56 offset1:58
	v_add_co_u32 v2, vcc_lo, v17, v14
	v_lshlrev_b64 v[6:7], 2, v[25:26]
	v_add_nc_u32_e32 v25, 0xe00, v27
	v_add_co_ci_u32_e32 v3, vcc_lo, v18, v15, vcc_lo
	v_add_co_u32 v0, vcc_lo, v17, v0
	v_lshlrev_b64 v[12:13], 2, v[25:26]
	v_add_nc_u32_e32 v25, 0xe80, v27
	v_add_co_ci_u32_e32 v1, vcc_lo, v18, v1, vcc_lo
	v_add_co_u32 v6, vcc_lo, v17, v6
	v_lshlrev_b64 v[14:15], 2, v[25:26]
	v_add_co_ci_u32_e32 v7, vcc_lo, v18, v7, vcc_lo
	v_add_co_u32 v12, vcc_lo, v17, v12
	v_add_co_ci_u32_e32 v13, vcc_lo, v18, v13, vcc_lo
	v_add_co_u32 v14, vcc_lo, v17, v14
	v_add_co_ci_u32_e32 v15, vcc_lo, v18, v15, vcc_lo
	global_store_dword v[2:3], v11, off
	s_waitcnt lgkmcnt(1)
	global_store_dword v[0:1], v4, off
	global_store_dword v[6:7], v5, off
	s_waitcnt lgkmcnt(0)
	global_store_dword v[12:13], v8, off
	global_store_dword v[14:15], v9, off
.LBB0_21:
	s_endpgm
	.section	.rodata,"a",@progbits
	.p2align	6, 0x0
	.amdhsa_kernel fft_rtc_fwd_len3840_factors_10_6_2_2_2_2_2_2_wgs_128_tpt_128_halfLds_half_op_CI_CI_unitstride_sbrr_C2R_dirReg
		.amdhsa_group_segment_fixed_size 0
		.amdhsa_private_segment_fixed_size 0
		.amdhsa_kernarg_size 104
		.amdhsa_user_sgpr_count 6
		.amdhsa_user_sgpr_private_segment_buffer 1
		.amdhsa_user_sgpr_dispatch_ptr 0
		.amdhsa_user_sgpr_queue_ptr 0
		.amdhsa_user_sgpr_kernarg_segment_ptr 1
		.amdhsa_user_sgpr_dispatch_id 0
		.amdhsa_user_sgpr_flat_scratch_init 0
		.amdhsa_user_sgpr_private_segment_size 0
		.amdhsa_wavefront_size32 1
		.amdhsa_uses_dynamic_stack 0
		.amdhsa_system_sgpr_private_segment_wavefront_offset 0
		.amdhsa_system_sgpr_workgroup_id_x 1
		.amdhsa_system_sgpr_workgroup_id_y 0
		.amdhsa_system_sgpr_workgroup_id_z 0
		.amdhsa_system_sgpr_workgroup_info 0
		.amdhsa_system_vgpr_workitem_id 0
		.amdhsa_next_free_vgpr 173
		.amdhsa_next_free_sgpr 27
		.amdhsa_reserve_vcc 1
		.amdhsa_reserve_flat_scratch 0
		.amdhsa_float_round_mode_32 0
		.amdhsa_float_round_mode_16_64 0
		.amdhsa_float_denorm_mode_32 3
		.amdhsa_float_denorm_mode_16_64 3
		.amdhsa_dx10_clamp 1
		.amdhsa_ieee_mode 1
		.amdhsa_fp16_overflow 0
		.amdhsa_workgroup_processor_mode 1
		.amdhsa_memory_ordered 1
		.amdhsa_forward_progress 0
		.amdhsa_shared_vgpr_count 0
		.amdhsa_exception_fp_ieee_invalid_op 0
		.amdhsa_exception_fp_denorm_src 0
		.amdhsa_exception_fp_ieee_div_zero 0
		.amdhsa_exception_fp_ieee_overflow 0
		.amdhsa_exception_fp_ieee_underflow 0
		.amdhsa_exception_fp_ieee_inexact 0
		.amdhsa_exception_int_div_zero 0
	.end_amdhsa_kernel
	.text
.Lfunc_end0:
	.size	fft_rtc_fwd_len3840_factors_10_6_2_2_2_2_2_2_wgs_128_tpt_128_halfLds_half_op_CI_CI_unitstride_sbrr_C2R_dirReg, .Lfunc_end0-fft_rtc_fwd_len3840_factors_10_6_2_2_2_2_2_2_wgs_128_tpt_128_halfLds_half_op_CI_CI_unitstride_sbrr_C2R_dirReg
                                        ; -- End function
	.section	.AMDGPU.csdata,"",@progbits
; Kernel info:
; codeLenInByte = 25232
; NumSgprs: 29
; NumVgprs: 173
; ScratchSize: 0
; MemoryBound: 0
; FloatMode: 240
; IeeeMode: 1
; LDSByteSize: 0 bytes/workgroup (compile time only)
; SGPRBlocks: 3
; VGPRBlocks: 21
; NumSGPRsForWavesPerEU: 29
; NumVGPRsForWavesPerEU: 173
; Occupancy: 5
; WaveLimiterHint : 1
; COMPUTE_PGM_RSRC2:SCRATCH_EN: 0
; COMPUTE_PGM_RSRC2:USER_SGPR: 6
; COMPUTE_PGM_RSRC2:TRAP_HANDLER: 0
; COMPUTE_PGM_RSRC2:TGID_X_EN: 1
; COMPUTE_PGM_RSRC2:TGID_Y_EN: 0
; COMPUTE_PGM_RSRC2:TGID_Z_EN: 0
; COMPUTE_PGM_RSRC2:TIDIG_COMP_CNT: 0
	.text
	.p2alignl 6, 3214868480
	.fill 48, 4, 3214868480
	.type	__hip_cuid_2dec661f10cf175,@object ; @__hip_cuid_2dec661f10cf175
	.section	.bss,"aw",@nobits
	.globl	__hip_cuid_2dec661f10cf175
__hip_cuid_2dec661f10cf175:
	.byte	0                               ; 0x0
	.size	__hip_cuid_2dec661f10cf175, 1

	.ident	"AMD clang version 19.0.0git (https://github.com/RadeonOpenCompute/llvm-project roc-6.4.0 25133 c7fe45cf4b819c5991fe208aaa96edf142730f1d)"
	.section	".note.GNU-stack","",@progbits
	.addrsig
	.addrsig_sym __hip_cuid_2dec661f10cf175
	.amdgpu_metadata
---
amdhsa.kernels:
  - .args:
      - .actual_access:  read_only
        .address_space:  global
        .offset:         0
        .size:           8
        .value_kind:     global_buffer
      - .offset:         8
        .size:           8
        .value_kind:     by_value
      - .actual_access:  read_only
        .address_space:  global
        .offset:         16
        .size:           8
        .value_kind:     global_buffer
      - .actual_access:  read_only
        .address_space:  global
        .offset:         24
        .size:           8
        .value_kind:     global_buffer
      - .actual_access:  read_only
        .address_space:  global
        .offset:         32
        .size:           8
        .value_kind:     global_buffer
      - .offset:         40
        .size:           8
        .value_kind:     by_value
      - .actual_access:  read_only
        .address_space:  global
        .offset:         48
        .size:           8
        .value_kind:     global_buffer
      - .actual_access:  read_only
        .address_space:  global
        .offset:         56
        .size:           8
        .value_kind:     global_buffer
      - .offset:         64
        .size:           4
        .value_kind:     by_value
      - .actual_access:  read_only
        .address_space:  global
        .offset:         72
        .size:           8
        .value_kind:     global_buffer
      - .actual_access:  read_only
        .address_space:  global
        .offset:         80
        .size:           8
        .value_kind:     global_buffer
      - .actual_access:  read_only
        .address_space:  global
        .offset:         88
        .size:           8
        .value_kind:     global_buffer
      - .actual_access:  write_only
        .address_space:  global
        .offset:         96
        .size:           8
        .value_kind:     global_buffer
    .group_segment_fixed_size: 0
    .kernarg_segment_align: 8
    .kernarg_segment_size: 104
    .language:       OpenCL C
    .language_version:
      - 2
      - 0
    .max_flat_workgroup_size: 128
    .name:           fft_rtc_fwd_len3840_factors_10_6_2_2_2_2_2_2_wgs_128_tpt_128_halfLds_half_op_CI_CI_unitstride_sbrr_C2R_dirReg
    .private_segment_fixed_size: 0
    .sgpr_count:     29
    .sgpr_spill_count: 0
    .symbol:         fft_rtc_fwd_len3840_factors_10_6_2_2_2_2_2_2_wgs_128_tpt_128_halfLds_half_op_CI_CI_unitstride_sbrr_C2R_dirReg.kd
    .uniform_work_group_size: 1
    .uses_dynamic_stack: false
    .vgpr_count:     173
    .vgpr_spill_count: 0
    .wavefront_size: 32
    .workgroup_processor_mode: 1
amdhsa.target:   amdgcn-amd-amdhsa--gfx1030
amdhsa.version:
  - 1
  - 2
...

	.end_amdgpu_metadata
